;; amdgpu-corpus repo=ROCm/hipCUB kind=compiled arch=gfx1100 opt=O3
	.text
	.amdgcn_target "amdgcn-amd-amdhsa--gfx1100"
	.amdhsa_code_object_version 6
	.section	.text._Z11rank_kernelILj193ELj2ELj4ELb1EL18RadixRankAlgorithm0E12hip_bfloat16EvPKT4_Pijj,"axG",@progbits,_Z11rank_kernelILj193ELj2ELj4ELb1EL18RadixRankAlgorithm0E12hip_bfloat16EvPKT4_Pijj,comdat
	.protected	_Z11rank_kernelILj193ELj2ELj4ELb1EL18RadixRankAlgorithm0E12hip_bfloat16EvPKT4_Pijj ; -- Begin function _Z11rank_kernelILj193ELj2ELj4ELb1EL18RadixRankAlgorithm0E12hip_bfloat16EvPKT4_Pijj
	.globl	_Z11rank_kernelILj193ELj2ELj4ELb1EL18RadixRankAlgorithm0E12hip_bfloat16EvPKT4_Pijj
	.p2align	8
	.type	_Z11rank_kernelILj193ELj2ELj4ELb1EL18RadixRankAlgorithm0E12hip_bfloat16EvPKT4_Pijj,@function
_Z11rank_kernelILj193ELj2ELj4ELb1EL18RadixRankAlgorithm0E12hip_bfloat16EvPKT4_Pijj: ; @_Z11rank_kernelILj193ELj2ELj4ELb1EL18RadixRankAlgorithm0E12hip_bfloat16EvPKT4_Pijj
; %bb.0:
	s_load_b128 s[4:7], s[0:1], 0x0
	s_mul_i32 s2, s15, 0x182
	s_mov_b32 s3, 0
	v_dual_mov_b32 v4, 0 :: v_dual_lshlrev_b32 v3, 2, v0
	s_lshl_b64 s[8:9], s[2:3], 1
	v_lshlrev_b32_e32 v1, 1, v0
	v_add_nc_u32_e32 v5, 0xffffff3f, v0
	s_waitcnt lgkmcnt(0)
	s_add_u32 s4, s4, s8
	s_addc_u32 s5, s5, s9
	global_load_b32 v2, v3, s[4:5]
	s_mov_b32 s4, s3
.LBB0_1:                                ; =>This Inner Loop Header: Depth=1
	v_add_nc_u32_e32 v5, 0xc1, v5
	ds_store_b32 v3, v4
	v_add_nc_u32_e32 v3, 0x304, v3
	v_cmp_lt_u32_e32 vcc_lo, 0x546, v5
	s_or_b32 s4, vcc_lo, s4
	s_delay_alu instid0(SALU_CYCLE_1)
	s_and_not1_b32 exec_lo, exec_lo, s4
	s_cbranch_execnz .LBB0_1
; %bb.2:
	s_or_b32 exec_lo, exec_lo, s4
	s_load_b64 s[0:1], s[0:1], 0x10
	s_waitcnt vmcnt(0)
	v_cmp_lt_i16_e32 vcc_lo, -1, v2
	v_cndmask_b32_e64 v3, -1, 0xffff8000, vcc_lo
	s_delay_alu instid0(VALU_DEP_1) | instskip(SKIP_1) | instid1(VALU_DEP_2)
	v_xor_b32_e32 v3, v3, v2
	v_lshrrev_b32_e32 v2, 16, v2
	v_cmp_ne_u16_e32 vcc_lo, 0x7fff, v3
	s_waitcnt lgkmcnt(0)
	s_and_b32 s1, s1, 31
	v_cndmask_b32_e32 v3, 0xffff8000, v3, vcc_lo
	s_cmp_eq_u32 s1, 0
	v_cmp_lt_i16_e32 vcc_lo, -1, v2
	s_cselect_b32 s4, -1, 0
	s_and_b32 s0, s0, 31
	v_and_b32_e32 v3, 0xffff, v3
	s_add_i32 s0, s0, s1
	v_cndmask_b32_e64 v4, -1, 0xffff8000, vcc_lo
	s_sub_i32 s0, 32, s0
	s_sub_i32 s1, 32, s1
	v_lshlrev_b32_e32 v3, s0, v3
	s_delay_alu instid0(VALU_DEP_2) | instskip(NEXT) | instid1(VALU_DEP_2)
	v_xor_b32_e32 v2, v4, v2
	v_bfe_u32 v3, v3, s1, 16
	s_delay_alu instid0(VALU_DEP_2) | instskip(NEXT) | instid1(VALU_DEP_2)
	v_cmp_ne_u16_e32 vcc_lo, 0x7fff, v2
	v_xor_b32_e32 v3, 15, v3
	v_cndmask_b32_e32 v2, 0xffff8000, v2, vcc_lo
	s_delay_alu instid0(VALU_DEP_2) | instskip(NEXT) | instid1(VALU_DEP_2)
	v_cndmask_b32_e64 v3, v3, 15, s4
	v_and_b32_e32 v2, 0xffff, v2
	s_delay_alu instid0(VALU_DEP_2) | instskip(SKIP_1) | instid1(VALU_DEP_3)
	v_and_b32_e32 v4, 7, v3
	v_lshrrev_b32_e32 v3, 3, v3
	v_lshlrev_b32_e32 v2, s0, v2
	s_mov_b32 s0, exec_lo
	s_delay_alu instid0(VALU_DEP_3) | instskip(NEXT) | instid1(VALU_DEP_2)
	v_mul_u32_u24_e32 v4, 0xc1, v4
	v_bfe_u32 v2, v2, s1, 16
	s_delay_alu instid0(VALU_DEP_2) | instskip(NEXT) | instid1(VALU_DEP_1)
	v_add_lshl_u32 v4, v4, v0, 1
	v_add_lshl_u32 v3, v4, v3, 1
	s_delay_alu instid0(VALU_DEP_3) | instskip(SKIP_2) | instid1(VALU_DEP_1)
	v_xor_b32_e32 v4, 15, v2
	ds_load_u16 v2, v3
	v_cndmask_b32_e64 v4, v4, 15, s4
	v_and_b32_e32 v5, 7, v4
	v_lshrrev_b32_e32 v4, 3, v4
	s_delay_alu instid0(VALU_DEP_2) | instskip(NEXT) | instid1(VALU_DEP_1)
	v_mul_u32_u24_e32 v5, 0xc1, v5
	v_add_lshl_u32 v5, v5, v0, 1
	s_waitcnt lgkmcnt(0)
	v_add_nc_u16 v6, v2, 1
	s_delay_alu instid0(VALU_DEP_2)
	v_add_lshl_u32 v4, v5, v4, 1
	ds_store_b16 v3, v6
	ds_load_u16 v5, v4
	v_lshlrev_b32_e32 v6, 5, v0
	s_waitcnt lgkmcnt(0)
	v_add_nc_u16 v7, v5, 1
	ds_store_b16 v4, v7
	s_waitcnt lgkmcnt(0)
	s_barrier
	buffer_gl0_inv
	ds_load_2addr_b32 v[7:8], v6 offset1:1
	ds_load_2addr_b32 v[9:10], v6 offset0:2 offset1:3
	ds_load_2addr_b32 v[11:12], v6 offset0:4 offset1:5
	ds_load_2addr_b32 v[13:14], v6 offset0:6 offset1:7
	s_waitcnt lgkmcnt(3)
	v_add_nc_u32_e32 v7, v8, v7
	s_waitcnt lgkmcnt(2)
	s_delay_alu instid0(VALU_DEP_1) | instskip(SKIP_1) | instid1(VALU_DEP_1)
	v_add3_u32 v7, v7, v9, v10
	s_waitcnt lgkmcnt(1)
	v_add3_u32 v8, v7, v11, v12
	v_mbcnt_lo_u32_b32 v7, -1, 0
	s_waitcnt lgkmcnt(0)
	s_delay_alu instid0(VALU_DEP_2) | instskip(NEXT) | instid1(VALU_DEP_2)
	v_add3_u32 v8, v8, v13, v14
	v_and_b32_e32 v9, 15, v7
	v_bfe_i32 v11, v7, 4, 1
	s_delay_alu instid0(VALU_DEP_3) | instskip(NEXT) | instid1(VALU_DEP_3)
	v_mov_b32_dpp v10, v8 row_shr:1 row_mask:0xf bank_mask:0xf
	v_cmp_ne_u32_e32 vcc_lo, 0, v9
	s_delay_alu instid0(VALU_DEP_2) | instskip(SKIP_1) | instid1(VALU_DEP_2)
	v_cndmask_b32_e32 v10, 0, v10, vcc_lo
	v_cmp_lt_u32_e32 vcc_lo, 1, v9
	v_add_nc_u32_e32 v8, v10, v8
	s_delay_alu instid0(VALU_DEP_1) | instskip(NEXT) | instid1(VALU_DEP_1)
	v_mov_b32_dpp v10, v8 row_shr:2 row_mask:0xf bank_mask:0xf
	v_cndmask_b32_e32 v10, 0, v10, vcc_lo
	v_cmp_lt_u32_e32 vcc_lo, 3, v9
	s_delay_alu instid0(VALU_DEP_2) | instskip(NEXT) | instid1(VALU_DEP_1)
	v_add_nc_u32_e32 v8, v8, v10
	v_mov_b32_dpp v10, v8 row_shr:4 row_mask:0xf bank_mask:0xf
	s_delay_alu instid0(VALU_DEP_1) | instskip(SKIP_1) | instid1(VALU_DEP_2)
	v_cndmask_b32_e32 v10, 0, v10, vcc_lo
	v_cmp_lt_u32_e32 vcc_lo, 7, v9
	v_add_nc_u32_e32 v8, v8, v10
	s_delay_alu instid0(VALU_DEP_1) | instskip(NEXT) | instid1(VALU_DEP_1)
	v_mov_b32_dpp v10, v8 row_shr:8 row_mask:0xf bank_mask:0xf
	v_dual_cndmask_b32 v9, 0, v10 :: v_dual_and_b32 v10, 0xe0, v0
	s_delay_alu instid0(VALU_DEP_1) | instskip(NEXT) | instid1(VALU_DEP_2)
	v_add_nc_u32_e32 v8, v8, v9
	v_min_u32_e32 v10, 0xa1, v10
	ds_swizzle_b32 v9, v8 offset:swizzle(BROADCAST,32,15)
	v_add_nc_u32_e32 v10, 31, v10
	s_waitcnt lgkmcnt(0)
	v_and_b32_e32 v9, v11, v9
	v_lshrrev_b32_e32 v11, 5, v0
	s_delay_alu instid0(VALU_DEP_2) | instskip(NEXT) | instid1(VALU_DEP_2)
	v_add_nc_u32_e32 v8, v8, v9
	v_lshlrev_b32_e32 v9, 2, v11
	v_cmpx_eq_u32_e64 v10, v0
	s_cbranch_execz .LBB0_4
; %bb.3:
	ds_store_b32 v9, v8 offset:6176
.LBB0_4:
	s_or_b32 exec_lo, exec_lo, s0
	s_delay_alu instid0(SALU_CYCLE_1)
	s_mov_b32 s0, exec_lo
	s_waitcnt lgkmcnt(0)
	s_barrier
	buffer_gl0_inv
	v_cmpx_gt_u32_e32 7, v0
	s_cbranch_execz .LBB0_6
; %bb.5:
	v_and_b32_e32 v12, 7, v7
	s_delay_alu instid0(VALU_DEP_1) | instskip(SKIP_4) | instid1(VALU_DEP_1)
	v_cmp_ne_u32_e32 vcc_lo, 0, v12
	v_lshlrev_b32_e32 v10, 2, v0
	ds_load_b32 v11, v10 offset:6176
	s_waitcnt lgkmcnt(0)
	v_mov_b32_dpp v13, v11 row_shr:1 row_mask:0xf bank_mask:0xf
	v_cndmask_b32_e32 v13, 0, v13, vcc_lo
	v_cmp_lt_u32_e32 vcc_lo, 1, v12
	s_delay_alu instid0(VALU_DEP_2) | instskip(NEXT) | instid1(VALU_DEP_1)
	v_add_nc_u32_e32 v11, v13, v11
	v_mov_b32_dpp v13, v11 row_shr:2 row_mask:0xf bank_mask:0xf
	s_delay_alu instid0(VALU_DEP_1) | instskip(SKIP_1) | instid1(VALU_DEP_2)
	v_cndmask_b32_e32 v13, 0, v13, vcc_lo
	v_cmp_lt_u32_e32 vcc_lo, 3, v12
	v_add_nc_u32_e32 v11, v11, v13
	s_delay_alu instid0(VALU_DEP_1) | instskip(NEXT) | instid1(VALU_DEP_1)
	v_mov_b32_dpp v13, v11 row_shr:4 row_mask:0xf bank_mask:0xf
	v_cndmask_b32_e32 v12, 0, v13, vcc_lo
	s_delay_alu instid0(VALU_DEP_1)
	v_add_nc_u32_e32 v11, v11, v12
	ds_store_b32 v10, v11 offset:6176
.LBB0_6:
	s_or_b32 exec_lo, exec_lo, s0
	v_cmp_lt_u32_e32 vcc_lo, 31, v0
	v_mov_b32_e32 v10, 0
	v_mov_b32_e32 v0, 0
	s_waitcnt lgkmcnt(0)
	s_barrier
	buffer_gl0_inv
	s_and_saveexec_b32 s0, vcc_lo
	s_cbranch_execz .LBB0_8
; %bb.7:
	ds_load_b32 v0, v9 offset:6172
.LBB0_8:
	s_or_b32 exec_lo, exec_lo, s0
	v_add_nc_u32_e32 v9, -1, v7
	v_and_b32_e32 v2, 0xffff, v2
	s_lshl_b64 s[0:1], s[2:3], 2
	s_waitcnt lgkmcnt(0)
	v_add_nc_u32_e32 v8, v0, v8
	s_add_u32 s0, s6, s0
	v_cmp_gt_i32_e32 vcc_lo, 0, v9
	s_addc_u32 s1, s7, s1
	v_cndmask_b32_e32 v9, v9, v7, vcc_lo
	v_cmp_eq_u32_e32 vcc_lo, 0, v7
	s_delay_alu instid0(VALU_DEP_2)
	v_lshlrev_b32_e32 v9, 2, v9
	ds_bpermute_b32 v11, v9, v8
	ds_load_b32 v12, v10 offset:6200
	ds_load_2addr_b32 v[8:9], v6 offset1:1
	s_waitcnt lgkmcnt(2)
	v_cndmask_b32_e32 v0, v11, v0, vcc_lo
	ds_load_2addr_b32 v[10:11], v6 offset0:2 offset1:3
	s_waitcnt lgkmcnt(2)
	v_lshl_add_u32 v0, v12, 16, v0
	ds_load_2addr_b32 v[12:13], v6 offset0:4 offset1:5
	ds_load_b32 v7, v6 offset:24
	s_waitcnt lgkmcnt(3)
	v_add_nc_u32_e32 v8, v0, v8
	s_delay_alu instid0(VALU_DEP_1) | instskip(SKIP_1) | instid1(VALU_DEP_1)
	v_add_nc_u32_e32 v9, v9, v8
	s_waitcnt lgkmcnt(2)
	v_add_nc_u32_e32 v10, v10, v9
	s_delay_alu instid0(VALU_DEP_1) | instskip(SKIP_1) | instid1(VALU_DEP_1)
	v_add_nc_u32_e32 v11, v11, v10
	;; [unrolled: 4-line block ×3, first 2 shown]
	s_waitcnt lgkmcnt(0)
	v_add_nc_u32_e32 v7, v7, v13
	ds_store_2addr_b32 v6, v0, v8 offset1:1
	ds_store_2addr_b32 v6, v9, v10 offset0:2 offset1:3
	ds_store_2addr_b32 v6, v11, v12 offset0:4 offset1:5
	;; [unrolled: 1-line block ×3, first 2 shown]
	s_waitcnt lgkmcnt(0)
	s_barrier
	buffer_gl0_inv
	ds_load_u16 v0, v3
	ds_load_u16 v3, v4
	v_and_b32_e32 v4, 0xffff, v5
	s_waitcnt lgkmcnt(1)
	v_add_nc_u32_e32 v2, v0, v2
	s_waitcnt lgkmcnt(0)
	s_delay_alu instid0(VALU_DEP_2)
	v_add_nc_u32_e32 v3, v3, v4
	v_lshlrev_b32_e32 v0, 2, v1
	global_store_b64 v0, v[2:3], s[0:1]
	s_nop 0
	s_sendmsg sendmsg(MSG_DEALLOC_VGPRS)
	s_endpgm
	.section	.rodata,"a",@progbits
	.p2align	6, 0x0
	.amdhsa_kernel _Z11rank_kernelILj193ELj2ELj4ELb1EL18RadixRankAlgorithm0E12hip_bfloat16EvPKT4_Pijj
		.amdhsa_group_segment_fixed_size 6208
		.amdhsa_private_segment_fixed_size 0
		.amdhsa_kernarg_size 24
		.amdhsa_user_sgpr_count 15
		.amdhsa_user_sgpr_dispatch_ptr 0
		.amdhsa_user_sgpr_queue_ptr 0
		.amdhsa_user_sgpr_kernarg_segment_ptr 1
		.amdhsa_user_sgpr_dispatch_id 0
		.amdhsa_user_sgpr_private_segment_size 0
		.amdhsa_wavefront_size32 1
		.amdhsa_uses_dynamic_stack 0
		.amdhsa_enable_private_segment 0
		.amdhsa_system_sgpr_workgroup_id_x 1
		.amdhsa_system_sgpr_workgroup_id_y 0
		.amdhsa_system_sgpr_workgroup_id_z 0
		.amdhsa_system_sgpr_workgroup_info 0
		.amdhsa_system_vgpr_workitem_id 0
		.amdhsa_next_free_vgpr 15
		.amdhsa_next_free_sgpr 16
		.amdhsa_reserve_vcc 1
		.amdhsa_float_round_mode_32 0
		.amdhsa_float_round_mode_16_64 0
		.amdhsa_float_denorm_mode_32 3
		.amdhsa_float_denorm_mode_16_64 3
		.amdhsa_dx10_clamp 1
		.amdhsa_ieee_mode 1
		.amdhsa_fp16_overflow 0
		.amdhsa_workgroup_processor_mode 1
		.amdhsa_memory_ordered 1
		.amdhsa_forward_progress 0
		.amdhsa_shared_vgpr_count 0
		.amdhsa_exception_fp_ieee_invalid_op 0
		.amdhsa_exception_fp_denorm_src 0
		.amdhsa_exception_fp_ieee_div_zero 0
		.amdhsa_exception_fp_ieee_overflow 0
		.amdhsa_exception_fp_ieee_underflow 0
		.amdhsa_exception_fp_ieee_inexact 0
		.amdhsa_exception_int_div_zero 0
	.end_amdhsa_kernel
	.section	.text._Z11rank_kernelILj193ELj2ELj4ELb1EL18RadixRankAlgorithm0E12hip_bfloat16EvPKT4_Pijj,"axG",@progbits,_Z11rank_kernelILj193ELj2ELj4ELb1EL18RadixRankAlgorithm0E12hip_bfloat16EvPKT4_Pijj,comdat
.Lfunc_end0:
	.size	_Z11rank_kernelILj193ELj2ELj4ELb1EL18RadixRankAlgorithm0E12hip_bfloat16EvPKT4_Pijj, .Lfunc_end0-_Z11rank_kernelILj193ELj2ELj4ELb1EL18RadixRankAlgorithm0E12hip_bfloat16EvPKT4_Pijj
                                        ; -- End function
	.section	.AMDGPU.csdata,"",@progbits
; Kernel info:
; codeLenInByte = 1260
; NumSgprs: 18
; NumVgprs: 15
; ScratchSize: 0
; MemoryBound: 0
; FloatMode: 240
; IeeeMode: 1
; LDSByteSize: 6208 bytes/workgroup (compile time only)
; SGPRBlocks: 2
; VGPRBlocks: 1
; NumSGPRsForWavesPerEU: 18
; NumVGPRsForWavesPerEU: 15
; Occupancy: 16
; WaveLimiterHint : 0
; COMPUTE_PGM_RSRC2:SCRATCH_EN: 0
; COMPUTE_PGM_RSRC2:USER_SGPR: 15
; COMPUTE_PGM_RSRC2:TRAP_HANDLER: 0
; COMPUTE_PGM_RSRC2:TGID_X_EN: 1
; COMPUTE_PGM_RSRC2:TGID_Y_EN: 0
; COMPUTE_PGM_RSRC2:TGID_Z_EN: 0
; COMPUTE_PGM_RSRC2:TIDIG_COMP_CNT: 0
	.section	.text._Z11rank_kernelILj193ELj2ELj4ELb1EL18RadixRankAlgorithm0E6__halfEvPKT4_Pijj,"axG",@progbits,_Z11rank_kernelILj193ELj2ELj4ELb1EL18RadixRankAlgorithm0E6__halfEvPKT4_Pijj,comdat
	.protected	_Z11rank_kernelILj193ELj2ELj4ELb1EL18RadixRankAlgorithm0E6__halfEvPKT4_Pijj ; -- Begin function _Z11rank_kernelILj193ELj2ELj4ELb1EL18RadixRankAlgorithm0E6__halfEvPKT4_Pijj
	.globl	_Z11rank_kernelILj193ELj2ELj4ELb1EL18RadixRankAlgorithm0E6__halfEvPKT4_Pijj
	.p2align	8
	.type	_Z11rank_kernelILj193ELj2ELj4ELb1EL18RadixRankAlgorithm0E6__halfEvPKT4_Pijj,@function
_Z11rank_kernelILj193ELj2ELj4ELb1EL18RadixRankAlgorithm0E6__halfEvPKT4_Pijj: ; @_Z11rank_kernelILj193ELj2ELj4ELb1EL18RadixRankAlgorithm0E6__halfEvPKT4_Pijj
; %bb.0:
	s_load_b128 s[4:7], s[0:1], 0x0
	s_mul_i32 s2, s15, 0x182
	s_mov_b32 s3, 0
	v_dual_mov_b32 v4, 0 :: v_dual_lshlrev_b32 v3, 2, v0
	s_lshl_b64 s[8:9], s[2:3], 1
	v_lshlrev_b32_e32 v1, 1, v0
	v_add_nc_u32_e32 v5, 0xffffff3f, v0
	s_waitcnt lgkmcnt(0)
	s_add_u32 s4, s4, s8
	s_addc_u32 s5, s5, s9
	global_load_b32 v2, v3, s[4:5]
	s_mov_b32 s4, s3
.LBB1_1:                                ; =>This Inner Loop Header: Depth=1
	v_add_nc_u32_e32 v5, 0xc1, v5
	ds_store_b32 v3, v4
	v_add_nc_u32_e32 v3, 0x304, v3
	v_cmp_lt_u32_e32 vcc_lo, 0x546, v5
	s_or_b32 s4, vcc_lo, s4
	s_delay_alu instid0(SALU_CYCLE_1)
	s_and_not1_b32 exec_lo, exec_lo, s4
	s_cbranch_execnz .LBB1_1
; %bb.2:
	s_or_b32 exec_lo, exec_lo, s4
	s_load_b64 s[0:1], s[0:1], 0x10
	s_waitcnt vmcnt(0)
	v_cmp_lt_i16_e32 vcc_lo, -1, v2
	v_cndmask_b32_e64 v3, -1, 0xffff8000, vcc_lo
	s_delay_alu instid0(VALU_DEP_1) | instskip(SKIP_1) | instid1(VALU_DEP_2)
	v_xor_b32_e32 v3, v3, v2
	v_lshrrev_b32_e32 v2, 16, v2
	v_cmp_ne_u16_e32 vcc_lo, 0x7fff, v3
	s_waitcnt lgkmcnt(0)
	s_and_b32 s1, s1, 31
	v_cndmask_b32_e32 v3, 0xffff8000, v3, vcc_lo
	s_cmp_eq_u32 s1, 0
	v_cmp_lt_i16_e32 vcc_lo, -1, v2
	s_cselect_b32 s4, -1, 0
	s_and_b32 s0, s0, 31
	v_and_b32_e32 v3, 0xffff, v3
	s_add_i32 s0, s0, s1
	v_cndmask_b32_e64 v4, -1, 0xffff8000, vcc_lo
	s_sub_i32 s0, 32, s0
	s_sub_i32 s1, 32, s1
	v_lshlrev_b32_e32 v3, s0, v3
	s_delay_alu instid0(VALU_DEP_2) | instskip(NEXT) | instid1(VALU_DEP_2)
	v_xor_b32_e32 v2, v4, v2
	v_bfe_u32 v3, v3, s1, 16
	s_delay_alu instid0(VALU_DEP_2) | instskip(NEXT) | instid1(VALU_DEP_2)
	v_cmp_ne_u16_e32 vcc_lo, 0x7fff, v2
	v_xor_b32_e32 v3, 15, v3
	v_cndmask_b32_e32 v2, 0xffff8000, v2, vcc_lo
	s_delay_alu instid0(VALU_DEP_2) | instskip(NEXT) | instid1(VALU_DEP_2)
	v_cndmask_b32_e64 v3, v3, 15, s4
	v_and_b32_e32 v2, 0xffff, v2
	s_delay_alu instid0(VALU_DEP_2) | instskip(SKIP_1) | instid1(VALU_DEP_3)
	v_and_b32_e32 v4, 7, v3
	v_lshrrev_b32_e32 v3, 3, v3
	v_lshlrev_b32_e32 v2, s0, v2
	s_mov_b32 s0, exec_lo
	s_delay_alu instid0(VALU_DEP_3) | instskip(NEXT) | instid1(VALU_DEP_2)
	v_mul_u32_u24_e32 v4, 0xc1, v4
	v_bfe_u32 v2, v2, s1, 16
	s_delay_alu instid0(VALU_DEP_2) | instskip(NEXT) | instid1(VALU_DEP_1)
	v_add_lshl_u32 v4, v4, v0, 1
	v_add_lshl_u32 v3, v4, v3, 1
	s_delay_alu instid0(VALU_DEP_3) | instskip(SKIP_2) | instid1(VALU_DEP_1)
	v_xor_b32_e32 v4, 15, v2
	ds_load_u16 v2, v3
	v_cndmask_b32_e64 v4, v4, 15, s4
	v_and_b32_e32 v5, 7, v4
	v_lshrrev_b32_e32 v4, 3, v4
	s_delay_alu instid0(VALU_DEP_2) | instskip(NEXT) | instid1(VALU_DEP_1)
	v_mul_u32_u24_e32 v5, 0xc1, v5
	v_add_lshl_u32 v5, v5, v0, 1
	s_waitcnt lgkmcnt(0)
	v_add_nc_u16 v6, v2, 1
	s_delay_alu instid0(VALU_DEP_2)
	v_add_lshl_u32 v4, v5, v4, 1
	ds_store_b16 v3, v6
	ds_load_u16 v5, v4
	v_lshlrev_b32_e32 v6, 5, v0
	s_waitcnt lgkmcnt(0)
	v_add_nc_u16 v7, v5, 1
	ds_store_b16 v4, v7
	s_waitcnt lgkmcnt(0)
	s_barrier
	buffer_gl0_inv
	ds_load_2addr_b32 v[7:8], v6 offset1:1
	ds_load_2addr_b32 v[9:10], v6 offset0:2 offset1:3
	ds_load_2addr_b32 v[11:12], v6 offset0:4 offset1:5
	;; [unrolled: 1-line block ×3, first 2 shown]
	s_waitcnt lgkmcnt(3)
	v_add_nc_u32_e32 v7, v8, v7
	s_waitcnt lgkmcnt(2)
	s_delay_alu instid0(VALU_DEP_1) | instskip(SKIP_1) | instid1(VALU_DEP_1)
	v_add3_u32 v7, v7, v9, v10
	s_waitcnt lgkmcnt(1)
	v_add3_u32 v8, v7, v11, v12
	v_mbcnt_lo_u32_b32 v7, -1, 0
	s_waitcnt lgkmcnt(0)
	s_delay_alu instid0(VALU_DEP_2) | instskip(NEXT) | instid1(VALU_DEP_2)
	v_add3_u32 v8, v8, v13, v14
	v_and_b32_e32 v9, 15, v7
	v_bfe_i32 v11, v7, 4, 1
	s_delay_alu instid0(VALU_DEP_3) | instskip(NEXT) | instid1(VALU_DEP_3)
	v_mov_b32_dpp v10, v8 row_shr:1 row_mask:0xf bank_mask:0xf
	v_cmp_ne_u32_e32 vcc_lo, 0, v9
	s_delay_alu instid0(VALU_DEP_2) | instskip(SKIP_1) | instid1(VALU_DEP_2)
	v_cndmask_b32_e32 v10, 0, v10, vcc_lo
	v_cmp_lt_u32_e32 vcc_lo, 1, v9
	v_add_nc_u32_e32 v8, v10, v8
	s_delay_alu instid0(VALU_DEP_1) | instskip(NEXT) | instid1(VALU_DEP_1)
	v_mov_b32_dpp v10, v8 row_shr:2 row_mask:0xf bank_mask:0xf
	v_cndmask_b32_e32 v10, 0, v10, vcc_lo
	v_cmp_lt_u32_e32 vcc_lo, 3, v9
	s_delay_alu instid0(VALU_DEP_2) | instskip(NEXT) | instid1(VALU_DEP_1)
	v_add_nc_u32_e32 v8, v8, v10
	v_mov_b32_dpp v10, v8 row_shr:4 row_mask:0xf bank_mask:0xf
	s_delay_alu instid0(VALU_DEP_1) | instskip(SKIP_1) | instid1(VALU_DEP_2)
	v_cndmask_b32_e32 v10, 0, v10, vcc_lo
	v_cmp_lt_u32_e32 vcc_lo, 7, v9
	v_add_nc_u32_e32 v8, v8, v10
	s_delay_alu instid0(VALU_DEP_1) | instskip(NEXT) | instid1(VALU_DEP_1)
	v_mov_b32_dpp v10, v8 row_shr:8 row_mask:0xf bank_mask:0xf
	v_dual_cndmask_b32 v9, 0, v10 :: v_dual_and_b32 v10, 0xe0, v0
	s_delay_alu instid0(VALU_DEP_1) | instskip(NEXT) | instid1(VALU_DEP_2)
	v_add_nc_u32_e32 v8, v8, v9
	v_min_u32_e32 v10, 0xa1, v10
	ds_swizzle_b32 v9, v8 offset:swizzle(BROADCAST,32,15)
	v_add_nc_u32_e32 v10, 31, v10
	s_waitcnt lgkmcnt(0)
	v_and_b32_e32 v9, v11, v9
	v_lshrrev_b32_e32 v11, 5, v0
	s_delay_alu instid0(VALU_DEP_2) | instskip(NEXT) | instid1(VALU_DEP_2)
	v_add_nc_u32_e32 v8, v8, v9
	v_lshlrev_b32_e32 v9, 2, v11
	v_cmpx_eq_u32_e64 v10, v0
	s_cbranch_execz .LBB1_4
; %bb.3:
	ds_store_b32 v9, v8 offset:6176
.LBB1_4:
	s_or_b32 exec_lo, exec_lo, s0
	s_delay_alu instid0(SALU_CYCLE_1)
	s_mov_b32 s0, exec_lo
	s_waitcnt lgkmcnt(0)
	s_barrier
	buffer_gl0_inv
	v_cmpx_gt_u32_e32 7, v0
	s_cbranch_execz .LBB1_6
; %bb.5:
	v_and_b32_e32 v12, 7, v7
	s_delay_alu instid0(VALU_DEP_1) | instskip(SKIP_4) | instid1(VALU_DEP_1)
	v_cmp_ne_u32_e32 vcc_lo, 0, v12
	v_lshlrev_b32_e32 v10, 2, v0
	ds_load_b32 v11, v10 offset:6176
	s_waitcnt lgkmcnt(0)
	v_mov_b32_dpp v13, v11 row_shr:1 row_mask:0xf bank_mask:0xf
	v_cndmask_b32_e32 v13, 0, v13, vcc_lo
	v_cmp_lt_u32_e32 vcc_lo, 1, v12
	s_delay_alu instid0(VALU_DEP_2) | instskip(NEXT) | instid1(VALU_DEP_1)
	v_add_nc_u32_e32 v11, v13, v11
	v_mov_b32_dpp v13, v11 row_shr:2 row_mask:0xf bank_mask:0xf
	s_delay_alu instid0(VALU_DEP_1) | instskip(SKIP_1) | instid1(VALU_DEP_2)
	v_cndmask_b32_e32 v13, 0, v13, vcc_lo
	v_cmp_lt_u32_e32 vcc_lo, 3, v12
	v_add_nc_u32_e32 v11, v11, v13
	s_delay_alu instid0(VALU_DEP_1) | instskip(NEXT) | instid1(VALU_DEP_1)
	v_mov_b32_dpp v13, v11 row_shr:4 row_mask:0xf bank_mask:0xf
	v_cndmask_b32_e32 v12, 0, v13, vcc_lo
	s_delay_alu instid0(VALU_DEP_1)
	v_add_nc_u32_e32 v11, v11, v12
	ds_store_b32 v10, v11 offset:6176
.LBB1_6:
	s_or_b32 exec_lo, exec_lo, s0
	v_cmp_lt_u32_e32 vcc_lo, 31, v0
	v_mov_b32_e32 v10, 0
	v_mov_b32_e32 v0, 0
	s_waitcnt lgkmcnt(0)
	s_barrier
	buffer_gl0_inv
	s_and_saveexec_b32 s0, vcc_lo
	s_cbranch_execz .LBB1_8
; %bb.7:
	ds_load_b32 v0, v9 offset:6172
.LBB1_8:
	s_or_b32 exec_lo, exec_lo, s0
	v_add_nc_u32_e32 v9, -1, v7
	v_and_b32_e32 v2, 0xffff, v2
	s_lshl_b64 s[0:1], s[2:3], 2
	s_waitcnt lgkmcnt(0)
	v_add_nc_u32_e32 v8, v0, v8
	s_add_u32 s0, s6, s0
	v_cmp_gt_i32_e32 vcc_lo, 0, v9
	s_addc_u32 s1, s7, s1
	v_cndmask_b32_e32 v9, v9, v7, vcc_lo
	v_cmp_eq_u32_e32 vcc_lo, 0, v7
	s_delay_alu instid0(VALU_DEP_2)
	v_lshlrev_b32_e32 v9, 2, v9
	ds_bpermute_b32 v11, v9, v8
	ds_load_b32 v12, v10 offset:6200
	ds_load_2addr_b32 v[8:9], v6 offset1:1
	s_waitcnt lgkmcnt(2)
	v_cndmask_b32_e32 v0, v11, v0, vcc_lo
	ds_load_2addr_b32 v[10:11], v6 offset0:2 offset1:3
	s_waitcnt lgkmcnt(2)
	v_lshl_add_u32 v0, v12, 16, v0
	ds_load_2addr_b32 v[12:13], v6 offset0:4 offset1:5
	ds_load_b32 v7, v6 offset:24
	s_waitcnt lgkmcnt(3)
	v_add_nc_u32_e32 v8, v0, v8
	s_delay_alu instid0(VALU_DEP_1) | instskip(SKIP_1) | instid1(VALU_DEP_1)
	v_add_nc_u32_e32 v9, v9, v8
	s_waitcnt lgkmcnt(2)
	v_add_nc_u32_e32 v10, v10, v9
	s_delay_alu instid0(VALU_DEP_1) | instskip(SKIP_1) | instid1(VALU_DEP_1)
	v_add_nc_u32_e32 v11, v11, v10
	;; [unrolled: 4-line block ×3, first 2 shown]
	s_waitcnt lgkmcnt(0)
	v_add_nc_u32_e32 v7, v7, v13
	ds_store_2addr_b32 v6, v0, v8 offset1:1
	ds_store_2addr_b32 v6, v9, v10 offset0:2 offset1:3
	ds_store_2addr_b32 v6, v11, v12 offset0:4 offset1:5
	;; [unrolled: 1-line block ×3, first 2 shown]
	s_waitcnt lgkmcnt(0)
	s_barrier
	buffer_gl0_inv
	ds_load_u16 v0, v3
	ds_load_u16 v3, v4
	v_and_b32_e32 v4, 0xffff, v5
	s_waitcnt lgkmcnt(1)
	v_add_nc_u32_e32 v2, v0, v2
	s_waitcnt lgkmcnt(0)
	s_delay_alu instid0(VALU_DEP_2)
	v_add_nc_u32_e32 v3, v3, v4
	v_lshlrev_b32_e32 v0, 2, v1
	global_store_b64 v0, v[2:3], s[0:1]
	s_nop 0
	s_sendmsg sendmsg(MSG_DEALLOC_VGPRS)
	s_endpgm
	.section	.rodata,"a",@progbits
	.p2align	6, 0x0
	.amdhsa_kernel _Z11rank_kernelILj193ELj2ELj4ELb1EL18RadixRankAlgorithm0E6__halfEvPKT4_Pijj
		.amdhsa_group_segment_fixed_size 6208
		.amdhsa_private_segment_fixed_size 0
		.amdhsa_kernarg_size 24
		.amdhsa_user_sgpr_count 15
		.amdhsa_user_sgpr_dispatch_ptr 0
		.amdhsa_user_sgpr_queue_ptr 0
		.amdhsa_user_sgpr_kernarg_segment_ptr 1
		.amdhsa_user_sgpr_dispatch_id 0
		.amdhsa_user_sgpr_private_segment_size 0
		.amdhsa_wavefront_size32 1
		.amdhsa_uses_dynamic_stack 0
		.amdhsa_enable_private_segment 0
		.amdhsa_system_sgpr_workgroup_id_x 1
		.amdhsa_system_sgpr_workgroup_id_y 0
		.amdhsa_system_sgpr_workgroup_id_z 0
		.amdhsa_system_sgpr_workgroup_info 0
		.amdhsa_system_vgpr_workitem_id 0
		.amdhsa_next_free_vgpr 15
		.amdhsa_next_free_sgpr 16
		.amdhsa_reserve_vcc 1
		.amdhsa_float_round_mode_32 0
		.amdhsa_float_round_mode_16_64 0
		.amdhsa_float_denorm_mode_32 3
		.amdhsa_float_denorm_mode_16_64 3
		.amdhsa_dx10_clamp 1
		.amdhsa_ieee_mode 1
		.amdhsa_fp16_overflow 0
		.amdhsa_workgroup_processor_mode 1
		.amdhsa_memory_ordered 1
		.amdhsa_forward_progress 0
		.amdhsa_shared_vgpr_count 0
		.amdhsa_exception_fp_ieee_invalid_op 0
		.amdhsa_exception_fp_denorm_src 0
		.amdhsa_exception_fp_ieee_div_zero 0
		.amdhsa_exception_fp_ieee_overflow 0
		.amdhsa_exception_fp_ieee_underflow 0
		.amdhsa_exception_fp_ieee_inexact 0
		.amdhsa_exception_int_div_zero 0
	.end_amdhsa_kernel
	.section	.text._Z11rank_kernelILj193ELj2ELj4ELb1EL18RadixRankAlgorithm0E6__halfEvPKT4_Pijj,"axG",@progbits,_Z11rank_kernelILj193ELj2ELj4ELb1EL18RadixRankAlgorithm0E6__halfEvPKT4_Pijj,comdat
.Lfunc_end1:
	.size	_Z11rank_kernelILj193ELj2ELj4ELb1EL18RadixRankAlgorithm0E6__halfEvPKT4_Pijj, .Lfunc_end1-_Z11rank_kernelILj193ELj2ELj4ELb1EL18RadixRankAlgorithm0E6__halfEvPKT4_Pijj
                                        ; -- End function
	.section	.AMDGPU.csdata,"",@progbits
; Kernel info:
; codeLenInByte = 1260
; NumSgprs: 18
; NumVgprs: 15
; ScratchSize: 0
; MemoryBound: 0
; FloatMode: 240
; IeeeMode: 1
; LDSByteSize: 6208 bytes/workgroup (compile time only)
; SGPRBlocks: 2
; VGPRBlocks: 1
; NumSGPRsForWavesPerEU: 18
; NumVGPRsForWavesPerEU: 15
; Occupancy: 16
; WaveLimiterHint : 0
; COMPUTE_PGM_RSRC2:SCRATCH_EN: 0
; COMPUTE_PGM_RSRC2:USER_SGPR: 15
; COMPUTE_PGM_RSRC2:TRAP_HANDLER: 0
; COMPUTE_PGM_RSRC2:TGID_X_EN: 1
; COMPUTE_PGM_RSRC2:TGID_Y_EN: 0
; COMPUTE_PGM_RSRC2:TGID_Z_EN: 0
; COMPUTE_PGM_RSRC2:TIDIG_COMP_CNT: 0
	.section	.text._Z11rank_kernelILj162ELj2ELj6ELb1EL18RadixRankAlgorithm0EjEvPKT4_Pijj,"axG",@progbits,_Z11rank_kernelILj162ELj2ELj6ELb1EL18RadixRankAlgorithm0EjEvPKT4_Pijj,comdat
	.protected	_Z11rank_kernelILj162ELj2ELj6ELb1EL18RadixRankAlgorithm0EjEvPKT4_Pijj ; -- Begin function _Z11rank_kernelILj162ELj2ELj6ELb1EL18RadixRankAlgorithm0EjEvPKT4_Pijj
	.globl	_Z11rank_kernelILj162ELj2ELj6ELb1EL18RadixRankAlgorithm0EjEvPKT4_Pijj
	.p2align	8
	.type	_Z11rank_kernelILj162ELj2ELj6ELb1EL18RadixRankAlgorithm0EjEvPKT4_Pijj,@function
_Z11rank_kernelILj162ELj2ELj6ELb1EL18RadixRankAlgorithm0EjEvPKT4_Pijj: ; @_Z11rank_kernelILj162ELj2ELj6ELb1EL18RadixRankAlgorithm0EjEvPKT4_Pijj
; %bb.0:
	s_load_b128 s[4:7], s[0:1], 0x0
	s_mul_i32 s8, s15, 0x144
	s_mov_b32 s9, 0
	v_dual_mov_b32 v4, 0 :: v_dual_lshlrev_b32 v1, 3, v0
	s_lshl_b64 s[2:3], s[8:9], 2
	v_lshlrev_b32_e32 v3, 1, v0
	v_lshlrev_b32_e32 v5, 2, v0
	v_add_nc_u32_e32 v6, 0xffffff5e, v0
	s_waitcnt lgkmcnt(0)
	s_add_u32 s4, s4, s2
	s_addc_u32 s5, s5, s3
	global_load_b64 v[1:2], v1, s[4:5]
.LBB2_1:                                ; =>This Inner Loop Header: Depth=1
	v_add_nc_u32_e32 v6, 0xa2, v6
	ds_store_b32 v5, v4
	v_add_nc_u32_e32 v5, 0x288, v5
	v_cmp_lt_u32_e32 vcc_lo, 0x139d, v6
	s_or_b32 s9, vcc_lo, s9
	s_delay_alu instid0(SALU_CYCLE_1)
	s_and_not1_b32 exec_lo, exec_lo, s9
	s_cbranch_execnz .LBB2_1
; %bb.2:
	s_or_b32 exec_lo, exec_lo, s9
	s_load_b64 s[0:1], s[0:1], 0x10
	s_waitcnt lgkmcnt(0)
	s_and_b32 s1, s1, 31
	s_delay_alu instid0(SALU_CYCLE_1) | instskip(SKIP_2) | instid1(SALU_CYCLE_1)
	s_cmp_eq_u32 s1, 0
	s_cselect_b32 s4, -1, 0
	s_and_b32 s0, s0, 31
	s_add_i32 s0, s0, s1
	s_sub_i32 s1, 32, s1
	s_sub_i32 s0, 32, s0
	s_waitcnt vmcnt(0)
	v_lshlrev_b32_e32 v1, s0, v1
	v_lshlrev_b32_e32 v2, s0, v2
	s_mov_b32 s0, exec_lo
	s_delay_alu instid0(VALU_DEP_2) | instskip(NEXT) | instid1(VALU_DEP_2)
	v_lshrrev_b32_e32 v1, s1, v1
	v_lshrrev_b32_e32 v5, s1, v2
	s_delay_alu instid0(VALU_DEP_2) | instskip(NEXT) | instid1(VALU_DEP_1)
	v_xor_b32_e32 v1, 63, v1
	v_cndmask_b32_e64 v1, v1, 63, s4
	s_delay_alu instid0(VALU_DEP_1) | instskip(SKIP_1) | instid1(VALU_DEP_2)
	v_and_b32_e32 v4, 31, v1
	v_lshrrev_b32_e32 v1, 5, v1
	v_mul_u32_u24_e32 v4, 0xa2, v4
	s_delay_alu instid0(VALU_DEP_1) | instskip(NEXT) | instid1(VALU_DEP_1)
	v_add_lshl_u32 v4, v4, v0, 1
	v_add_lshl_u32 v2, v4, v1, 1
	v_xor_b32_e32 v4, 63, v5
	ds_load_u16 v1, v2
	v_cndmask_b32_e64 v4, v4, 63, s4
	s_delay_alu instid0(VALU_DEP_1) | instskip(SKIP_1) | instid1(VALU_DEP_2)
	v_and_b32_e32 v5, 31, v4
	v_lshrrev_b32_e32 v4, 5, v4
	v_mul_u32_u24_e32 v5, 0xa2, v5
	s_delay_alu instid0(VALU_DEP_1) | instskip(SKIP_2) | instid1(VALU_DEP_2)
	v_add_lshl_u32 v5, v5, v0, 1
	s_waitcnt lgkmcnt(0)
	v_add_nc_u16 v6, v1, 1
	v_add_lshl_u32 v4, v5, v4, 1
	ds_store_b16 v2, v6
	ds_load_u16 v5, v4
	v_lshlrev_b32_e32 v6, 7, v0
	s_waitcnt lgkmcnt(0)
	v_add_nc_u16 v7, v5, 1
	ds_store_b16 v4, v7
	s_waitcnt lgkmcnt(0)
	s_barrier
	buffer_gl0_inv
	ds_load_2addr_b32 v[7:8], v6 offset1:1
	ds_load_2addr_b32 v[9:10], v6 offset0:2 offset1:3
	ds_load_2addr_b32 v[11:12], v6 offset0:4 offset1:5
	;; [unrolled: 1-line block ×3, first 2 shown]
	s_waitcnt lgkmcnt(3)
	v_add_nc_u32_e32 v15, v8, v7
	ds_load_2addr_b32 v[7:8], v6 offset0:8 offset1:9
	s_waitcnt lgkmcnt(3)
	v_add3_u32 v15, v15, v9, v10
	ds_load_2addr_b32 v[9:10], v6 offset0:10 offset1:11
	s_waitcnt lgkmcnt(3)
	v_add3_u32 v15, v15, v11, v12
	;; [unrolled: 3-line block ×10, first 2 shown]
	ds_load_2addr_b32 v[11:12], v6 offset0:28 offset1:29
	ds_load_2addr_b32 v[15:16], v6 offset0:30 offset1:31
	s_waitcnt lgkmcnt(4)
	v_add3_u32 v13, v17, v13, v14
	s_waitcnt lgkmcnt(3)
	s_delay_alu instid0(VALU_DEP_1) | instskip(SKIP_1) | instid1(VALU_DEP_1)
	v_add3_u32 v7, v13, v7, v8
	s_waitcnt lgkmcnt(2)
	v_add3_u32 v7, v7, v9, v10
	s_waitcnt lgkmcnt(1)
	s_delay_alu instid0(VALU_DEP_1) | instskip(SKIP_2) | instid1(VALU_DEP_2)
	v_add3_u32 v8, v7, v11, v12
	v_mbcnt_lo_u32_b32 v7, -1, 0
	s_waitcnt lgkmcnt(0)
	v_add3_u32 v8, v8, v15, v16
	s_delay_alu instid0(VALU_DEP_2) | instskip(SKIP_1) | instid1(VALU_DEP_3)
	v_and_b32_e32 v9, 15, v7
	v_bfe_i32 v11, v7, 4, 1
	v_mov_b32_dpp v10, v8 row_shr:1 row_mask:0xf bank_mask:0xf
	s_delay_alu instid0(VALU_DEP_3) | instskip(NEXT) | instid1(VALU_DEP_2)
	v_cmp_ne_u32_e32 vcc_lo, 0, v9
	v_cndmask_b32_e32 v10, 0, v10, vcc_lo
	v_cmp_lt_u32_e32 vcc_lo, 1, v9
	s_delay_alu instid0(VALU_DEP_2) | instskip(NEXT) | instid1(VALU_DEP_1)
	v_add_nc_u32_e32 v8, v10, v8
	v_mov_b32_dpp v10, v8 row_shr:2 row_mask:0xf bank_mask:0xf
	s_delay_alu instid0(VALU_DEP_1) | instskip(SKIP_1) | instid1(VALU_DEP_2)
	v_cndmask_b32_e32 v10, 0, v10, vcc_lo
	v_cmp_lt_u32_e32 vcc_lo, 3, v9
	v_add_nc_u32_e32 v8, v8, v10
	s_delay_alu instid0(VALU_DEP_1) | instskip(NEXT) | instid1(VALU_DEP_1)
	v_mov_b32_dpp v10, v8 row_shr:4 row_mask:0xf bank_mask:0xf
	v_cndmask_b32_e32 v10, 0, v10, vcc_lo
	v_cmp_lt_u32_e32 vcc_lo, 7, v9
	s_delay_alu instid0(VALU_DEP_2) | instskip(NEXT) | instid1(VALU_DEP_1)
	v_add_nc_u32_e32 v8, v8, v10
	v_mov_b32_dpp v10, v8 row_shr:8 row_mask:0xf bank_mask:0xf
	s_delay_alu instid0(VALU_DEP_1) | instskip(NEXT) | instid1(VALU_DEP_1)
	v_dual_cndmask_b32 v9, 0, v10 :: v_dual_and_b32 v10, 0xe0, v0
	v_add_nc_u32_e32 v8, v8, v9
	s_delay_alu instid0(VALU_DEP_2)
	v_min_u32_e32 v10, 0x82, v10
	ds_swizzle_b32 v9, v8 offset:swizzle(BROADCAST,32,15)
	v_add_nc_u32_e32 v10, 31, v10
	s_waitcnt lgkmcnt(0)
	v_and_b32_e32 v9, v11, v9
	v_lshrrev_b32_e32 v11, 5, v0
	s_delay_alu instid0(VALU_DEP_2) | instskip(NEXT) | instid1(VALU_DEP_2)
	v_add_nc_u32_e32 v8, v8, v9
	v_lshlrev_b32_e32 v9, 2, v11
	v_cmpx_eq_u32_e64 v10, v0
	s_cbranch_execz .LBB2_4
; %bb.3:
	ds_store_b32 v9, v8 offset:20736
.LBB2_4:
	s_or_b32 exec_lo, exec_lo, s0
	s_delay_alu instid0(SALU_CYCLE_1)
	s_mov_b32 s0, exec_lo
	s_waitcnt lgkmcnt(0)
	s_barrier
	buffer_gl0_inv
	v_cmpx_gt_u32_e32 6, v0
	s_cbranch_execz .LBB2_6
; %bb.5:
	v_and_b32_e32 v12, 7, v7
	s_delay_alu instid0(VALU_DEP_1) | instskip(SKIP_4) | instid1(VALU_DEP_1)
	v_cmp_ne_u32_e32 vcc_lo, 0, v12
	v_lshlrev_b32_e32 v10, 2, v0
	ds_load_b32 v11, v10 offset:20736
	s_waitcnt lgkmcnt(0)
	v_mov_b32_dpp v13, v11 row_shr:1 row_mask:0xf bank_mask:0xf
	v_cndmask_b32_e32 v13, 0, v13, vcc_lo
	v_cmp_lt_u32_e32 vcc_lo, 1, v12
	s_delay_alu instid0(VALU_DEP_2) | instskip(NEXT) | instid1(VALU_DEP_1)
	v_add_nc_u32_e32 v11, v13, v11
	v_mov_b32_dpp v13, v11 row_shr:2 row_mask:0xf bank_mask:0xf
	s_delay_alu instid0(VALU_DEP_1) | instskip(SKIP_1) | instid1(VALU_DEP_2)
	v_cndmask_b32_e32 v13, 0, v13, vcc_lo
	v_cmp_lt_u32_e32 vcc_lo, 3, v12
	v_add_nc_u32_e32 v11, v11, v13
	s_delay_alu instid0(VALU_DEP_1) | instskip(NEXT) | instid1(VALU_DEP_1)
	v_mov_b32_dpp v13, v11 row_shr:4 row_mask:0xf bank_mask:0xf
	v_cndmask_b32_e32 v12, 0, v13, vcc_lo
	s_delay_alu instid0(VALU_DEP_1)
	v_add_nc_u32_e32 v11, v11, v12
	ds_store_b32 v10, v11 offset:20736
.LBB2_6:
	s_or_b32 exec_lo, exec_lo, s0
	v_cmp_lt_u32_e32 vcc_lo, 31, v0
	v_mov_b32_e32 v10, 0
	v_mov_b32_e32 v0, 0
	s_waitcnt lgkmcnt(0)
	s_barrier
	buffer_gl0_inv
	s_and_saveexec_b32 s0, vcc_lo
	s_cbranch_execz .LBB2_8
; %bb.7:
	ds_load_b32 v0, v9 offset:20732
.LBB2_8:
	s_or_b32 exec_lo, exec_lo, s0
	v_add_nc_u32_e32 v9, -1, v7
	v_and_b32_e32 v1, 0xffff, v1
	s_add_u32 s0, s6, s2
	s_addc_u32 s1, s7, s3
	s_waitcnt lgkmcnt(0)
	v_add_nc_u32_e32 v8, v0, v8
	v_cmp_gt_i32_e32 vcc_lo, 0, v9
	v_cndmask_b32_e32 v9, v9, v7, vcc_lo
	v_cmp_eq_u32_e32 vcc_lo, 0, v7
	s_delay_alu instid0(VALU_DEP_2)
	v_lshlrev_b32_e32 v9, 2, v9
	ds_bpermute_b32 v11, v9, v8
	ds_load_b32 v12, v10 offset:20756
	ds_load_2addr_b32 v[8:9], v6 offset1:1
	s_waitcnt lgkmcnt(2)
	v_cndmask_b32_e32 v0, v11, v0, vcc_lo
	ds_load_2addr_b32 v[10:11], v6 offset0:2 offset1:3
	s_waitcnt lgkmcnt(2)
	v_lshl_add_u32 v0, v12, 16, v0
	ds_load_2addr_b32 v[12:13], v6 offset0:4 offset1:5
	ds_load_2addr_b32 v[14:15], v6 offset0:6 offset1:7
	s_waitcnt lgkmcnt(3)
	v_add_nc_u32_e32 v16, v0, v8
	ds_load_2addr_b32 v[7:8], v6 offset0:8 offset1:9
	v_add_nc_u32_e32 v17, v9, v16
	s_waitcnt lgkmcnt(3)
	s_delay_alu instid0(VALU_DEP_1) | instskip(SKIP_3) | instid1(VALU_DEP_1)
	v_add_nc_u32_e32 v18, v10, v17
	ds_load_2addr_b32 v[9:10], v6 offset0:10 offset1:11
	v_add_nc_u32_e32 v19, v11, v18
	s_waitcnt lgkmcnt(3)
	v_add_nc_u32_e32 v20, v12, v19
	s_delay_alu instid0(VALU_DEP_1) | instskip(SKIP_1) | instid1(VALU_DEP_1)
	v_add_nc_u32_e32 v21, v13, v20
	s_waitcnt lgkmcnt(2)
	v_add_nc_u32_e32 v22, v14, v21
	ds_load_2addr_b32 v[11:12], v6 offset0:12 offset1:13
	ds_load_2addr_b32 v[13:14], v6 offset0:14 offset1:15
	v_add_nc_u32_e32 v15, v15, v22
	s_waitcnt lgkmcnt(3)
	s_delay_alu instid0(VALU_DEP_1) | instskip(NEXT) | instid1(VALU_DEP_1)
	v_add_nc_u32_e32 v23, v7, v15
	v_add_nc_u32_e32 v24, v8, v23
	ds_load_2addr_b32 v[7:8], v6 offset0:16 offset1:17
	s_waitcnt lgkmcnt(3)
	v_add_nc_u32_e32 v25, v9, v24
	s_delay_alu instid0(VALU_DEP_1) | instskip(SKIP_3) | instid1(VALU_DEP_1)
	v_add_nc_u32_e32 v26, v10, v25
	ds_load_2addr_b32 v[9:10], v6 offset0:18 offset1:19
	s_waitcnt lgkmcnt(3)
	v_add_nc_u32_e32 v27, v11, v26
	v_add_nc_u32_e32 v28, v12, v27
	s_waitcnt lgkmcnt(2)
	s_delay_alu instid0(VALU_DEP_1) | instskip(NEXT) | instid1(VALU_DEP_1)
	v_add_nc_u32_e32 v29, v13, v28
	v_add_nc_u32_e32 v30, v14, v29
	ds_load_2addr_b32 v[11:12], v6 offset0:20 offset1:21
	ds_load_2addr_b32 v[13:14], v6 offset0:22 offset1:23
	s_waitcnt lgkmcnt(3)
	v_add_nc_u32_e32 v31, v7, v30
	s_delay_alu instid0(VALU_DEP_1) | instskip(SKIP_3) | instid1(VALU_DEP_1)
	v_add_nc_u32_e32 v32, v8, v31
	ds_load_2addr_b32 v[7:8], v6 offset0:24 offset1:25
	s_waitcnt lgkmcnt(3)
	v_add_nc_u32_e32 v33, v9, v32
	v_add_nc_u32_e32 v34, v10, v33
	ds_load_2addr_b32 v[9:10], v6 offset0:26 offset1:27
	s_waitcnt lgkmcnt(3)
	v_add_nc_u32_e32 v35, v11, v34
	s_delay_alu instid0(VALU_DEP_1)
	v_add_nc_u32_e32 v36, v12, v35
	ds_load_2addr_b32 v[11:12], v6 offset0:28 offset1:29
	ds_load_b32 v37, v6 offset:120
	ds_store_2addr_b32 v6, v0, v16 offset1:1
	ds_store_2addr_b32 v6, v17, v18 offset0:2 offset1:3
	ds_store_2addr_b32 v6, v19, v20 offset0:4 offset1:5
	;; [unrolled: 1-line block ×7, first 2 shown]
	s_waitcnt lgkmcnt(12)
	v_add_nc_u32_e32 v13, v13, v36
	s_delay_alu instid0(VALU_DEP_1) | instskip(SKIP_1) | instid1(VALU_DEP_1)
	v_add_nc_u32_e32 v14, v14, v13
	s_waitcnt lgkmcnt(11)
	v_add_nc_u32_e32 v7, v7, v14
	s_delay_alu instid0(VALU_DEP_1) | instskip(SKIP_1) | instid1(VALU_DEP_1)
	v_add_nc_u32_e32 v8, v8, v7
	;; [unrolled: 4-line block ×4, first 2 shown]
	s_waitcnt lgkmcnt(8)
	v_add_nc_u32_e32 v12, v37, v0
	ds_store_2addr_b32 v6, v30, v31 offset0:16 offset1:17
	ds_store_2addr_b32 v6, v32, v33 offset0:18 offset1:19
	;; [unrolled: 1-line block ×8, first 2 shown]
	s_waitcnt lgkmcnt(0)
	s_barrier
	buffer_gl0_inv
	ds_load_u16 v0, v2
	ds_load_u16 v2, v4
	v_and_b32_e32 v4, 0xffff, v5
	s_waitcnt lgkmcnt(1)
	v_add_nc_u32_e32 v0, v0, v1
	s_waitcnt lgkmcnt(0)
	s_delay_alu instid0(VALU_DEP_2)
	v_add_nc_u32_e32 v1, v2, v4
	v_lshlrev_b32_e32 v2, 2, v3
	global_store_b64 v2, v[0:1], s[0:1]
	s_nop 0
	s_sendmsg sendmsg(MSG_DEALLOC_VGPRS)
	s_endpgm
	.section	.rodata,"a",@progbits
	.p2align	6, 0x0
	.amdhsa_kernel _Z11rank_kernelILj162ELj2ELj6ELb1EL18RadixRankAlgorithm0EjEvPKT4_Pijj
		.amdhsa_group_segment_fixed_size 20768
		.amdhsa_private_segment_fixed_size 0
		.amdhsa_kernarg_size 24
		.amdhsa_user_sgpr_count 15
		.amdhsa_user_sgpr_dispatch_ptr 0
		.amdhsa_user_sgpr_queue_ptr 0
		.amdhsa_user_sgpr_kernarg_segment_ptr 1
		.amdhsa_user_sgpr_dispatch_id 0
		.amdhsa_user_sgpr_private_segment_size 0
		.amdhsa_wavefront_size32 1
		.amdhsa_uses_dynamic_stack 0
		.amdhsa_enable_private_segment 0
		.amdhsa_system_sgpr_workgroup_id_x 1
		.amdhsa_system_sgpr_workgroup_id_y 0
		.amdhsa_system_sgpr_workgroup_id_z 0
		.amdhsa_system_sgpr_workgroup_info 0
		.amdhsa_system_vgpr_workitem_id 0
		.amdhsa_next_free_vgpr 38
		.amdhsa_next_free_sgpr 16
		.amdhsa_reserve_vcc 1
		.amdhsa_float_round_mode_32 0
		.amdhsa_float_round_mode_16_64 0
		.amdhsa_float_denorm_mode_32 3
		.amdhsa_float_denorm_mode_16_64 3
		.amdhsa_dx10_clamp 1
		.amdhsa_ieee_mode 1
		.amdhsa_fp16_overflow 0
		.amdhsa_workgroup_processor_mode 1
		.amdhsa_memory_ordered 1
		.amdhsa_forward_progress 0
		.amdhsa_shared_vgpr_count 0
		.amdhsa_exception_fp_ieee_invalid_op 0
		.amdhsa_exception_fp_denorm_src 0
		.amdhsa_exception_fp_ieee_div_zero 0
		.amdhsa_exception_fp_ieee_overflow 0
		.amdhsa_exception_fp_ieee_underflow 0
		.amdhsa_exception_fp_ieee_inexact 0
		.amdhsa_exception_int_div_zero 0
	.end_amdhsa_kernel
	.section	.text._Z11rank_kernelILj162ELj2ELj6ELb1EL18RadixRankAlgorithm0EjEvPKT4_Pijj,"axG",@progbits,_Z11rank_kernelILj162ELj2ELj6ELb1EL18RadixRankAlgorithm0EjEvPKT4_Pijj,comdat
.Lfunc_end2:
	.size	_Z11rank_kernelILj162ELj2ELj6ELb1EL18RadixRankAlgorithm0EjEvPKT4_Pijj, .Lfunc_end2-_Z11rank_kernelILj162ELj2ELj6ELb1EL18RadixRankAlgorithm0EjEvPKT4_Pijj
                                        ; -- End function
	.section	.AMDGPU.csdata,"",@progbits
; Kernel info:
; codeLenInByte = 1756
; NumSgprs: 18
; NumVgprs: 38
; ScratchSize: 0
; MemoryBound: 0
; FloatMode: 240
; IeeeMode: 1
; LDSByteSize: 20768 bytes/workgroup (compile time only)
; SGPRBlocks: 2
; VGPRBlocks: 4
; NumSGPRsForWavesPerEU: 18
; NumVGPRsForWavesPerEU: 38
; Occupancy: 9
; WaveLimiterHint : 0
; COMPUTE_PGM_RSRC2:SCRATCH_EN: 0
; COMPUTE_PGM_RSRC2:USER_SGPR: 15
; COMPUTE_PGM_RSRC2:TRAP_HANDLER: 0
; COMPUTE_PGM_RSRC2:TGID_X_EN: 1
; COMPUTE_PGM_RSRC2:TGID_Y_EN: 0
; COMPUTE_PGM_RSRC2:TGID_Z_EN: 0
; COMPUTE_PGM_RSRC2:TIDIG_COMP_CNT: 0
	.section	.text._Z11rank_kernelILj60ELj1ELj3ELb1EL18RadixRankAlgorithm0EfEvPKT4_Pijj,"axG",@progbits,_Z11rank_kernelILj60ELj1ELj3ELb1EL18RadixRankAlgorithm0EfEvPKT4_Pijj,comdat
	.protected	_Z11rank_kernelILj60ELj1ELj3ELb1EL18RadixRankAlgorithm0EfEvPKT4_Pijj ; -- Begin function _Z11rank_kernelILj60ELj1ELj3ELb1EL18RadixRankAlgorithm0EfEvPKT4_Pijj
	.globl	_Z11rank_kernelILj60ELj1ELj3ELb1EL18RadixRankAlgorithm0EfEvPKT4_Pijj
	.p2align	8
	.type	_Z11rank_kernelILj60ELj1ELj3ELb1EL18RadixRankAlgorithm0EfEvPKT4_Pijj,@function
_Z11rank_kernelILj60ELj1ELj3ELb1EL18RadixRankAlgorithm0EfEvPKT4_Pijj: ; @_Z11rank_kernelILj60ELj1ELj3ELb1EL18RadixRankAlgorithm0EfEvPKT4_Pijj
; %bb.0:
	s_load_b128 s[4:7], s[0:1], 0x0
	s_mul_i32 s2, s15, 60
	s_mov_b32 s3, 0
	v_lshlrev_b32_e32 v1, 2, v0
	s_lshl_b64 s[2:3], s[2:3], 2
                                        ; implicit-def: $vgpr4
	s_waitcnt lgkmcnt(0)
	s_add_u32 s4, s4, s2
	s_addc_u32 s5, s5, s3
	global_load_b32 v2, v1, s[4:5]
	s_mov_b32 s4, exec_lo
	v_cmpx_lt_u32_e32 0xef, v0
	s_xor_b32 s4, exec_lo, s4
; %bb.1:
	v_lshlrev_b32_e32 v4, 2, v0
; %bb.2:
	s_and_not1_saveexec_b32 s4, s4
	s_cbranch_execz .LBB3_6
; %bb.3:
	v_subrev_nc_u32_e32 v3, 60, v0
	v_dual_mov_b32 v4, 0 :: v_dual_mov_b32 v5, v1
	s_mov_b32 s5, 0
.LBB3_4:                                ; =>This Inner Loop Header: Depth=1
	s_delay_alu instid0(VALU_DEP_2) | instskip(SKIP_4) | instid1(SALU_CYCLE_1)
	v_add_nc_u32_e32 v3, 60, v3
	ds_store_b32 v5, v4
	v_add_nc_u32_e32 v5, 0xf0, v5
	v_cmp_lt_u32_e32 vcc_lo, 0xb3, v3
	s_or_b32 s5, vcc_lo, s5
	s_and_not1_b32 exec_lo, exec_lo, s5
	s_cbranch_execnz .LBB3_4
; %bb.5:
	s_or_b32 exec_lo, exec_lo, s5
	v_mov_b32_e32 v4, v1
.LBB3_6:
	s_or_b32 exec_lo, exec_lo, s4
	s_load_b64 s[0:1], s[0:1], 0x10
	s_waitcnt vmcnt(0)
	v_cmp_lt_i32_e32 vcc_lo, -1, v2
	v_lshlrev_b32_e32 v4, 2, v4
	v_cndmask_b32_e64 v3, -1, 0x80000000, vcc_lo
	s_delay_alu instid0(VALU_DEP_1) | instskip(NEXT) | instid1(VALU_DEP_1)
	v_xor_b32_e32 v2, v3, v2
	v_cmp_ne_u32_e32 vcc_lo, 0x7fffffff, v2
	s_waitcnt lgkmcnt(0)
	s_and_b32 s1, s1, 31
	s_and_b32 s0, s0, 31
	v_cndmask_b32_e32 v2, 0x80000000, v2, vcc_lo
	s_add_i32 s0, s0, s1
	s_delay_alu instid0(SALU_CYCLE_1)
	s_sub_i32 s0, 32, s0
	s_delay_alu instid0(VALU_DEP_1) | instid1(SALU_CYCLE_1)
	v_lshlrev_b32_e32 v2, s0, v2
	s_sub_i32 s0, 32, s1
	s_cmp_lg_u32 s1, 0
	s_cselect_b32 vcc_lo, -1, 0
	s_delay_alu instid0(VALU_DEP_1) | instskip(SKIP_1) | instid1(VALU_DEP_1)
	v_lshrrev_b32_e32 v2, s0, v2
	s_mov_b32 s0, exec_lo
	v_xor_b32_e32 v2, 7, v2
	s_delay_alu instid0(VALU_DEP_1) | instskip(NEXT) | instid1(VALU_DEP_1)
	v_cndmask_b32_e32 v2, 7, v2, vcc_lo
	v_and_b32_e32 v3, 3, v2
	v_lshrrev_b32_e32 v2, 2, v2
	s_delay_alu instid0(VALU_DEP_2) | instskip(NEXT) | instid1(VALU_DEP_1)
	v_mul_u32_u24_e32 v3, 60, v3
	v_add_lshl_u32 v3, v3, v0, 1
	s_delay_alu instid0(VALU_DEP_1)
	v_add_lshl_u32 v2, v3, v2, 1
	ds_load_u16 v3, v2
	s_waitcnt lgkmcnt(0)
	v_add_nc_u16 v5, v3, 1
	ds_store_b16 v2, v5
	s_waitcnt lgkmcnt(0)
	s_barrier
	buffer_gl0_inv
	ds_load_2addr_b32 v[5:6], v4 offset1:1
	ds_load_2addr_b32 v[7:8], v4 offset0:2 offset1:3
	s_waitcnt lgkmcnt(1)
	v_add_nc_u32_e32 v6, v6, v5
	v_mbcnt_lo_u32_b32 v5, -1, 0
	s_waitcnt lgkmcnt(0)
	s_delay_alu instid0(VALU_DEP_2) | instskip(NEXT) | instid1(VALU_DEP_2)
	v_add3_u32 v6, v6, v7, v8
	v_and_b32_e32 v7, 15, v5
	v_bfe_i32 v9, v5, 4, 1
	s_delay_alu instid0(VALU_DEP_3) | instskip(NEXT) | instid1(VALU_DEP_3)
	v_mov_b32_dpp v8, v6 row_shr:1 row_mask:0xf bank_mask:0xf
	v_cmp_ne_u32_e32 vcc_lo, 0, v7
	s_delay_alu instid0(VALU_DEP_2) | instskip(SKIP_1) | instid1(VALU_DEP_2)
	v_cndmask_b32_e32 v8, 0, v8, vcc_lo
	v_cmp_lt_u32_e32 vcc_lo, 1, v7
	v_add_nc_u32_e32 v6, v8, v6
	s_delay_alu instid0(VALU_DEP_1) | instskip(NEXT) | instid1(VALU_DEP_1)
	v_mov_b32_dpp v8, v6 row_shr:2 row_mask:0xf bank_mask:0xf
	v_cndmask_b32_e32 v8, 0, v8, vcc_lo
	v_cmp_lt_u32_e32 vcc_lo, 3, v7
	s_delay_alu instid0(VALU_DEP_2) | instskip(NEXT) | instid1(VALU_DEP_1)
	v_add_nc_u32_e32 v6, v6, v8
	v_mov_b32_dpp v8, v6 row_shr:4 row_mask:0xf bank_mask:0xf
	s_delay_alu instid0(VALU_DEP_1) | instskip(SKIP_1) | instid1(VALU_DEP_2)
	v_cndmask_b32_e32 v8, 0, v8, vcc_lo
	v_cmp_lt_u32_e32 vcc_lo, 7, v7
	v_add_nc_u32_e32 v6, v6, v8
	s_delay_alu instid0(VALU_DEP_1) | instskip(NEXT) | instid1(VALU_DEP_1)
	v_mov_b32_dpp v8, v6 row_shr:8 row_mask:0xf bank_mask:0xf
	v_cndmask_b32_e32 v7, 0, v8, vcc_lo
	v_and_b32_e32 v8, 32, v0
	s_delay_alu instid0(VALU_DEP_2) | instskip(NEXT) | instid1(VALU_DEP_2)
	v_add_nc_u32_e32 v6, v6, v7
	v_min_u32_e32 v8, 28, v8
	ds_swizzle_b32 v7, v6 offset:swizzle(BROADCAST,32,15)
	v_add_nc_u32_e32 v8, 31, v8
	s_waitcnt lgkmcnt(0)
	v_and_b32_e32 v7, v9, v7
	v_lshrrev_b32_e32 v9, 5, v0
	s_delay_alu instid0(VALU_DEP_2) | instskip(NEXT) | instid1(VALU_DEP_2)
	v_add_nc_u32_e32 v6, v6, v7
	v_lshlrev_b32_e32 v7, 2, v9
	v_cmpx_eq_u32_e64 v8, v0
	s_cbranch_execz .LBB3_8
; %bb.7:
	ds_store_b32 v7, v6 offset:960
.LBB3_8:
	s_or_b32 exec_lo, exec_lo, s0
	s_delay_alu instid0(SALU_CYCLE_1)
	s_mov_b32 s0, exec_lo
	s_waitcnt lgkmcnt(0)
	s_barrier
	buffer_gl0_inv
	v_cmpx_gt_u32_e32 2, v0
	s_cbranch_execz .LBB3_10
; %bb.9:
	ds_load_b32 v8, v1 offset:960
	v_bfe_i32 v9, v5, 0, 1
	s_waitcnt lgkmcnt(0)
	v_mov_b32_dpp v10, v8 row_shr:1 row_mask:0xf bank_mask:0xf
	s_delay_alu instid0(VALU_DEP_1) | instskip(NEXT) | instid1(VALU_DEP_1)
	v_and_b32_e32 v9, v9, v10
	v_add_nc_u32_e32 v8, v9, v8
	ds_store_b32 v1, v8 offset:960
.LBB3_10:
	s_or_b32 exec_lo, exec_lo, s0
	v_cmp_lt_u32_e32 vcc_lo, 31, v0
	v_mov_b32_e32 v8, 0
	v_mov_b32_e32 v0, 0
	s_waitcnt lgkmcnt(0)
	s_barrier
	buffer_gl0_inv
	s_and_saveexec_b32 s0, vcc_lo
	s_cbranch_execz .LBB3_12
; %bb.11:
	ds_load_b32 v0, v7 offset:956
.LBB3_12:
	s_or_b32 exec_lo, exec_lo, s0
	v_add_nc_u32_e32 v7, -1, v5
	s_add_u32 s0, s6, s2
	s_addc_u32 s1, s7, s3
	s_waitcnt lgkmcnt(0)
	v_add_nc_u32_e32 v6, v0, v6
	v_cmp_gt_i32_e32 vcc_lo, 0, v7
	v_cndmask_b32_e32 v7, v7, v5, vcc_lo
	v_cmp_eq_u32_e32 vcc_lo, 0, v5
	s_delay_alu instid0(VALU_DEP_2)
	v_lshlrev_b32_e32 v7, 2, v7
	ds_bpermute_b32 v9, v7, v6
	ds_load_b32 v8, v8 offset:964
	ds_load_2addr_b32 v[6:7], v4 offset1:1
	ds_load_b32 v10, v4 offset:8
	s_waitcnt lgkmcnt(3)
	v_cndmask_b32_e32 v0, v9, v0, vcc_lo
	s_waitcnt lgkmcnt(2)
	s_delay_alu instid0(VALU_DEP_1) | instskip(SKIP_1) | instid1(VALU_DEP_1)
	v_lshl_add_u32 v0, v8, 16, v0
	s_waitcnt lgkmcnt(1)
	v_add_nc_u32_e32 v5, v0, v6
	s_delay_alu instid0(VALU_DEP_1) | instskip(SKIP_1) | instid1(VALU_DEP_1)
	v_add_nc_u32_e32 v6, v7, v5
	s_waitcnt lgkmcnt(0)
	v_add_nc_u32_e32 v7, v10, v6
	ds_store_2addr_b32 v4, v0, v5 offset1:1
	ds_store_2addr_b32 v4, v6, v7 offset0:2 offset1:3
	s_waitcnt lgkmcnt(0)
	s_barrier
	buffer_gl0_inv
	ds_load_u16 v0, v2
	v_and_b32_e32 v2, 0xffff, v3
	s_waitcnt lgkmcnt(0)
	s_delay_alu instid0(VALU_DEP_1)
	v_add_nc_u32_e32 v0, v0, v2
	global_store_b32 v1, v0, s[0:1]
	s_nop 0
	s_sendmsg sendmsg(MSG_DEALLOC_VGPRS)
	s_endpgm
	.section	.rodata,"a",@progbits
	.p2align	6, 0x0
	.amdhsa_kernel _Z11rank_kernelILj60ELj1ELj3ELb1EL18RadixRankAlgorithm0EfEvPKT4_Pijj
		.amdhsa_group_segment_fixed_size 976
		.amdhsa_private_segment_fixed_size 0
		.amdhsa_kernarg_size 24
		.amdhsa_user_sgpr_count 15
		.amdhsa_user_sgpr_dispatch_ptr 0
		.amdhsa_user_sgpr_queue_ptr 0
		.amdhsa_user_sgpr_kernarg_segment_ptr 1
		.amdhsa_user_sgpr_dispatch_id 0
		.amdhsa_user_sgpr_private_segment_size 0
		.amdhsa_wavefront_size32 1
		.amdhsa_uses_dynamic_stack 0
		.amdhsa_enable_private_segment 0
		.amdhsa_system_sgpr_workgroup_id_x 1
		.amdhsa_system_sgpr_workgroup_id_y 0
		.amdhsa_system_sgpr_workgroup_id_z 0
		.amdhsa_system_sgpr_workgroup_info 0
		.amdhsa_system_vgpr_workitem_id 0
		.amdhsa_next_free_vgpr 11
		.amdhsa_next_free_sgpr 16
		.amdhsa_reserve_vcc 1
		.amdhsa_float_round_mode_32 0
		.amdhsa_float_round_mode_16_64 0
		.amdhsa_float_denorm_mode_32 3
		.amdhsa_float_denorm_mode_16_64 3
		.amdhsa_dx10_clamp 1
		.amdhsa_ieee_mode 1
		.amdhsa_fp16_overflow 0
		.amdhsa_workgroup_processor_mode 1
		.amdhsa_memory_ordered 1
		.amdhsa_forward_progress 0
		.amdhsa_shared_vgpr_count 0
		.amdhsa_exception_fp_ieee_invalid_op 0
		.amdhsa_exception_fp_denorm_src 0
		.amdhsa_exception_fp_ieee_div_zero 0
		.amdhsa_exception_fp_ieee_overflow 0
		.amdhsa_exception_fp_ieee_underflow 0
		.amdhsa_exception_fp_ieee_inexact 0
		.amdhsa_exception_int_div_zero 0
	.end_amdhsa_kernel
	.section	.text._Z11rank_kernelILj60ELj1ELj3ELb1EL18RadixRankAlgorithm0EfEvPKT4_Pijj,"axG",@progbits,_Z11rank_kernelILj60ELj1ELj3ELb1EL18RadixRankAlgorithm0EfEvPKT4_Pijj,comdat
.Lfunc_end3:
	.size	_Z11rank_kernelILj60ELj1ELj3ELb1EL18RadixRankAlgorithm0EfEvPKT4_Pijj, .Lfunc_end3-_Z11rank_kernelILj60ELj1ELj3ELb1EL18RadixRankAlgorithm0EfEvPKT4_Pijj
                                        ; -- End function
	.section	.AMDGPU.csdata,"",@progbits
; Kernel info:
; codeLenInByte = 916
; NumSgprs: 18
; NumVgprs: 11
; ScratchSize: 0
; MemoryBound: 0
; FloatMode: 240
; IeeeMode: 1
; LDSByteSize: 976 bytes/workgroup (compile time only)
; SGPRBlocks: 2
; VGPRBlocks: 1
; NumSGPRsForWavesPerEU: 18
; NumVGPRsForWavesPerEU: 11
; Occupancy: 16
; WaveLimiterHint : 0
; COMPUTE_PGM_RSRC2:SCRATCH_EN: 0
; COMPUTE_PGM_RSRC2:USER_SGPR: 15
; COMPUTE_PGM_RSRC2:TRAP_HANDLER: 0
; COMPUTE_PGM_RSRC2:TGID_X_EN: 1
; COMPUTE_PGM_RSRC2:TGID_Y_EN: 0
; COMPUTE_PGM_RSRC2:TGID_Z_EN: 0
; COMPUTE_PGM_RSRC2:TIDIG_COMP_CNT: 0
	.section	.text._Z11rank_kernelILj102ELj3ELj3ELb1EL18RadixRankAlgorithm0EtEvPKT4_Pijj,"axG",@progbits,_Z11rank_kernelILj102ELj3ELj3ELb1EL18RadixRankAlgorithm0EtEvPKT4_Pijj,comdat
	.protected	_Z11rank_kernelILj102ELj3ELj3ELb1EL18RadixRankAlgorithm0EtEvPKT4_Pijj ; -- Begin function _Z11rank_kernelILj102ELj3ELj3ELb1EL18RadixRankAlgorithm0EtEvPKT4_Pijj
	.globl	_Z11rank_kernelILj102ELj3ELj3ELb1EL18RadixRankAlgorithm0EtEvPKT4_Pijj
	.p2align	8
	.type	_Z11rank_kernelILj102ELj3ELj3ELb1EL18RadixRankAlgorithm0EtEvPKT4_Pijj,@function
_Z11rank_kernelILj102ELj3ELj3ELb1EL18RadixRankAlgorithm0EtEvPKT4_Pijj: ; @_Z11rank_kernelILj102ELj3ELj3ELb1EL18RadixRankAlgorithm0EtEvPKT4_Pijj
; %bb.0:
	s_load_b128 s[4:7], s[0:1], 0x0
	v_mul_u32_u24_e32 v1, 3, v0
	s_mov_b32 s3, 0
	s_mul_i32 s2, s15, 0x132
                                        ; implicit-def: $vgpr9
	s_delay_alu instid0(SALU_CYCLE_1) | instskip(NEXT) | instid1(VALU_DEP_1)
	s_lshl_b64 s[8:9], s[2:3], 1
	v_lshlrev_b32_e32 v2, 1, v1
	s_waitcnt lgkmcnt(0)
	s_add_u32 s4, s4, s8
	s_addc_u32 s5, s5, s9
	s_clause 0x1
	global_load_d16_b16 v5, v2, s[4:5] offset:4
	global_load_b32 v3, v2, s[4:5]
	v_lshlrev_b32_e32 v2, 2, v0
	s_mov_b32 s4, exec_lo
	v_cmpx_lt_u32_e32 0x197, v0
	s_xor_b32 s4, exec_lo, s4
; %bb.1:
	v_lshlrev_b32_e32 v9, 2, v0
; %bb.2:
	s_and_not1_saveexec_b32 s4, s4
	s_cbranch_execz .LBB4_6
; %bb.3:
	v_dual_mov_b32 v7, v2 :: v_dual_add_nc_u32 v4, 0xffffff9a, v0
	v_mov_b32_e32 v6, 0
	s_mov_b32 s5, 0
.LBB4_4:                                ; =>This Inner Loop Header: Depth=1
	s_delay_alu instid0(VALU_DEP_2) | instskip(SKIP_4) | instid1(SALU_CYCLE_1)
	v_add_nc_u32_e32 v4, 0x66, v4
	ds_store_b32 v7, v6
	v_add_nc_u32_e32 v7, 0x198, v7
	v_cmp_lt_u32_e32 vcc_lo, 0x131, v4
	s_or_b32 s5, vcc_lo, s5
	s_and_not1_b32 exec_lo, exec_lo, s5
	s_cbranch_execnz .LBB4_4
; %bb.5:
	s_or_b32 exec_lo, exec_lo, s5
	v_mov_b32_e32 v9, v2
.LBB4_6:
	s_or_b32 exec_lo, exec_lo, s4
	s_load_b64 s[0:1], s[0:1], 0x10
	s_waitcnt vmcnt(0)
	v_and_b32_e32 v4, 0xffff, v3
	v_lshrrev_b32_e32 v3, 16, v3
	v_and_b32_e32 v5, 0xffff, v5
	v_lshlrev_b32_e32 v9, 2, v9
	s_waitcnt lgkmcnt(0)
	s_and_b32 s1, s1, 31
	s_delay_alu instid0(SALU_CYCLE_1) | instskip(SKIP_2) | instid1(SALU_CYCLE_1)
	s_cmp_eq_u32 s1, 0
	s_cselect_b32 s4, -1, 0
	s_and_b32 s0, s0, 31
	s_add_i32 s0, s0, s1
	s_sub_i32 s1, 32, s1
	s_sub_i32 s0, 32, s0
	s_delay_alu instid0(SALU_CYCLE_1) | instskip(SKIP_3) | instid1(VALU_DEP_3)
	v_lshlrev_b32_e32 v4, s0, v4
	v_lshlrev_b32_e32 v3, s0, v3
	;; [unrolled: 1-line block ×3, first 2 shown]
	s_mov_b32 s0, exec_lo
	v_bfe_u32 v4, v4, s1, 16
	s_delay_alu instid0(VALU_DEP_3) | instskip(NEXT) | instid1(VALU_DEP_3)
	v_bfe_u32 v3, v3, s1, 16
	v_bfe_u32 v5, v5, s1, 16
	s_delay_alu instid0(VALU_DEP_3) | instskip(NEXT) | instid1(VALU_DEP_1)
	v_xor_b32_e32 v4, 7, v4
	v_cndmask_b32_e64 v4, v4, 7, s4
	s_delay_alu instid0(VALU_DEP_1) | instskip(SKIP_1) | instid1(VALU_DEP_2)
	v_and_b32_e32 v6, 3, v4
	v_lshrrev_b32_e32 v4, 2, v4
	v_mul_u32_u24_e32 v6, 0x66, v6
	s_delay_alu instid0(VALU_DEP_1) | instskip(NEXT) | instid1(VALU_DEP_1)
	v_add_lshl_u32 v6, v6, v0, 1
	v_add_lshl_u32 v4, v6, v4, 1
	v_xor_b32_e32 v6, 7, v3
	ds_load_u16 v3, v4
	v_cndmask_b32_e64 v6, v6, 7, s4
	s_delay_alu instid0(VALU_DEP_1) | instskip(SKIP_1) | instid1(VALU_DEP_2)
	v_and_b32_e32 v7, 3, v6
	v_lshrrev_b32_e32 v6, 2, v6
	v_mul_u32_u24_e32 v7, 0x66, v7
	s_delay_alu instid0(VALU_DEP_1) | instskip(SKIP_2) | instid1(VALU_DEP_2)
	v_add_lshl_u32 v7, v7, v0, 1
	s_waitcnt lgkmcnt(0)
	v_add_nc_u16 v8, v3, 1
	v_add_lshl_u32 v6, v7, v6, 1
	v_xor_b32_e32 v7, 7, v5
	ds_store_b16 v4, v8
	ds_load_u16 v5, v6
	v_cndmask_b32_e64 v7, v7, 7, s4
	s_delay_alu instid0(VALU_DEP_1) | instskip(SKIP_1) | instid1(VALU_DEP_2)
	v_and_b32_e32 v8, 3, v7
	v_lshrrev_b32_e32 v7, 2, v7
	v_mul_u32_u24_e32 v8, 0x66, v8
	s_delay_alu instid0(VALU_DEP_1) | instskip(SKIP_2) | instid1(VALU_DEP_2)
	v_add_lshl_u32 v8, v8, v0, 1
	s_waitcnt lgkmcnt(0)
	v_add_nc_u16 v10, v5, 1
	v_add_lshl_u32 v8, v8, v7, 1
	ds_store_b16 v6, v10
	ds_load_u16 v7, v8
	s_waitcnt lgkmcnt(0)
	v_add_nc_u16 v10, v7, 1
	ds_store_b16 v8, v10
	s_waitcnt lgkmcnt(0)
	s_barrier
	buffer_gl0_inv
	ds_load_2addr_b32 v[10:11], v9 offset1:1
	ds_load_2addr_b32 v[12:13], v9 offset0:2 offset1:3
	s_waitcnt lgkmcnt(1)
	v_add_nc_u32_e32 v11, v11, v10
	v_mbcnt_lo_u32_b32 v10, -1, 0
	s_waitcnt lgkmcnt(0)
	s_delay_alu instid0(VALU_DEP_2) | instskip(NEXT) | instid1(VALU_DEP_2)
	v_add3_u32 v11, v11, v12, v13
	v_and_b32_e32 v12, 15, v10
	v_bfe_i32 v14, v10, 4, 1
	s_delay_alu instid0(VALU_DEP_3) | instskip(NEXT) | instid1(VALU_DEP_3)
	v_mov_b32_dpp v13, v11 row_shr:1 row_mask:0xf bank_mask:0xf
	v_cmp_ne_u32_e32 vcc_lo, 0, v12
	s_delay_alu instid0(VALU_DEP_2) | instskip(SKIP_1) | instid1(VALU_DEP_2)
	v_cndmask_b32_e32 v13, 0, v13, vcc_lo
	v_cmp_lt_u32_e32 vcc_lo, 1, v12
	v_add_nc_u32_e32 v11, v13, v11
	s_delay_alu instid0(VALU_DEP_1) | instskip(NEXT) | instid1(VALU_DEP_1)
	v_mov_b32_dpp v13, v11 row_shr:2 row_mask:0xf bank_mask:0xf
	v_cndmask_b32_e32 v13, 0, v13, vcc_lo
	v_cmp_lt_u32_e32 vcc_lo, 3, v12
	s_delay_alu instid0(VALU_DEP_2) | instskip(NEXT) | instid1(VALU_DEP_1)
	v_add_nc_u32_e32 v11, v11, v13
	v_mov_b32_dpp v13, v11 row_shr:4 row_mask:0xf bank_mask:0xf
	s_delay_alu instid0(VALU_DEP_1) | instskip(SKIP_1) | instid1(VALU_DEP_2)
	v_cndmask_b32_e32 v13, 0, v13, vcc_lo
	v_cmp_lt_u32_e32 vcc_lo, 7, v12
	v_add_nc_u32_e32 v11, v11, v13
	s_delay_alu instid0(VALU_DEP_1) | instskip(NEXT) | instid1(VALU_DEP_1)
	v_mov_b32_dpp v13, v11 row_shr:8 row_mask:0xf bank_mask:0xf
	v_dual_cndmask_b32 v12, 0, v13 :: v_dual_and_b32 v13, 0x60, v0
	s_delay_alu instid0(VALU_DEP_1) | instskip(NEXT) | instid1(VALU_DEP_2)
	v_add_nc_u32_e32 v11, v11, v12
	v_min_u32_e32 v13, 0x46, v13
	ds_swizzle_b32 v12, v11 offset:swizzle(BROADCAST,32,15)
	v_add_nc_u32_e32 v13, 31, v13
	s_waitcnt lgkmcnt(0)
	v_and_b32_e32 v12, v14, v12
	v_lshrrev_b32_e32 v14, 5, v0
	s_delay_alu instid0(VALU_DEP_2) | instskip(NEXT) | instid1(VALU_DEP_2)
	v_add_nc_u32_e32 v11, v11, v12
	v_lshlrev_b32_e32 v12, 2, v14
	v_cmpx_eq_u32_e64 v13, v0
	s_cbranch_execz .LBB4_8
; %bb.7:
	ds_store_b32 v12, v11 offset:1632
.LBB4_8:
	s_or_b32 exec_lo, exec_lo, s0
	s_delay_alu instid0(SALU_CYCLE_1)
	s_mov_b32 s0, exec_lo
	s_waitcnt lgkmcnt(0)
	s_barrier
	buffer_gl0_inv
	v_cmpx_gt_u32_e32 4, v0
	s_cbranch_execz .LBB4_10
; %bb.9:
	ds_load_b32 v13, v2 offset:1632
	s_waitcnt lgkmcnt(0)
	v_mov_b32_dpp v15, v13 row_shr:1 row_mask:0xf bank_mask:0xf
	v_and_b32_e32 v14, 3, v10
	s_delay_alu instid0(VALU_DEP_1) | instskip(NEXT) | instid1(VALU_DEP_3)
	v_cmp_ne_u32_e32 vcc_lo, 0, v14
	v_cndmask_b32_e32 v15, 0, v15, vcc_lo
	v_cmp_lt_u32_e32 vcc_lo, 1, v14
	s_delay_alu instid0(VALU_DEP_2) | instskip(NEXT) | instid1(VALU_DEP_1)
	v_add_nc_u32_e32 v13, v15, v13
	v_mov_b32_dpp v15, v13 row_shr:2 row_mask:0xf bank_mask:0xf
	s_delay_alu instid0(VALU_DEP_1) | instskip(NEXT) | instid1(VALU_DEP_1)
	v_cndmask_b32_e32 v14, 0, v15, vcc_lo
	v_add_nc_u32_e32 v13, v13, v14
	ds_store_b32 v2, v13 offset:1632
.LBB4_10:
	s_or_b32 exec_lo, exec_lo, s0
	v_cmp_lt_u32_e32 vcc_lo, 31, v0
	v_mov_b32_e32 v2, 0
	v_mov_b32_e32 v0, 0
	s_waitcnt lgkmcnt(0)
	s_barrier
	buffer_gl0_inv
	s_and_saveexec_b32 s0, vcc_lo
	s_cbranch_execz .LBB4_12
; %bb.11:
	ds_load_b32 v0, v12 offset:1628
.LBB4_12:
	s_or_b32 exec_lo, exec_lo, s0
	v_add_nc_u32_e32 v12, -1, v10
	s_lshl_b64 s[0:1], s[2:3], 2
	s_delay_alu instid0(SALU_CYCLE_1) | instskip(SKIP_1) | instid1(VALU_DEP_1)
	s_add_u32 s0, s6, s0
	s_addc_u32 s1, s7, s1
	v_cmp_gt_i32_e32 vcc_lo, 0, v12
	v_cndmask_b32_e32 v12, v12, v10, vcc_lo
	v_cmp_eq_u32_e32 vcc_lo, 0, v10
	s_waitcnt lgkmcnt(0)
	v_add_nc_u32_e32 v11, v0, v11
	s_delay_alu instid0(VALU_DEP_3)
	v_lshlrev_b32_e32 v12, 2, v12
	ds_bpermute_b32 v13, v12, v11
	ds_load_b32 v2, v2 offset:1644
	ds_load_2addr_b32 v[11:12], v9 offset1:1
	ds_load_b32 v14, v9 offset:8
	s_waitcnt lgkmcnt(3)
	v_cndmask_b32_e32 v0, v13, v0, vcc_lo
	s_waitcnt lgkmcnt(2)
	s_delay_alu instid0(VALU_DEP_1) | instskip(SKIP_1) | instid1(VALU_DEP_1)
	v_lshl_add_u32 v0, v2, 16, v0
	s_waitcnt lgkmcnt(1)
	v_add_nc_u32_e32 v2, v0, v11
	s_delay_alu instid0(VALU_DEP_1) | instskip(SKIP_1) | instid1(VALU_DEP_1)
	v_add_nc_u32_e32 v10, v12, v2
	s_waitcnt lgkmcnt(0)
	v_add_nc_u32_e32 v11, v14, v10
	ds_store_2addr_b32 v9, v0, v2 offset1:1
	ds_store_2addr_b32 v9, v10, v11 offset0:2 offset1:3
	s_waitcnt lgkmcnt(0)
	s_barrier
	buffer_gl0_inv
	ds_load_u16 v0, v4
	ds_load_u16 v4, v6
	;; [unrolled: 1-line block ×3, first 2 shown]
	v_and_b32_e32 v2, 0xffff, v3
	v_and_b32_e32 v3, 0xffff, v5
	;; [unrolled: 1-line block ×3, first 2 shown]
	s_waitcnt lgkmcnt(2)
	s_delay_alu instid0(VALU_DEP_3)
	v_add_nc_u32_e32 v2, v0, v2
	s_waitcnt lgkmcnt(1)
	v_add_nc_u32_e32 v3, v4, v3
	s_waitcnt lgkmcnt(0)
	v_add_nc_u32_e32 v4, v6, v5
	v_lshlrev_b32_e32 v0, 2, v1
	global_store_b96 v0, v[2:4], s[0:1]
	s_nop 0
	s_sendmsg sendmsg(MSG_DEALLOC_VGPRS)
	s_endpgm
	.section	.rodata,"a",@progbits
	.p2align	6, 0x0
	.amdhsa_kernel _Z11rank_kernelILj102ELj3ELj3ELb1EL18RadixRankAlgorithm0EtEvPKT4_Pijj
		.amdhsa_group_segment_fixed_size 1648
		.amdhsa_private_segment_fixed_size 0
		.amdhsa_kernarg_size 24
		.amdhsa_user_sgpr_count 15
		.amdhsa_user_sgpr_dispatch_ptr 0
		.amdhsa_user_sgpr_queue_ptr 0
		.amdhsa_user_sgpr_kernarg_segment_ptr 1
		.amdhsa_user_sgpr_dispatch_id 0
		.amdhsa_user_sgpr_private_segment_size 0
		.amdhsa_wavefront_size32 1
		.amdhsa_uses_dynamic_stack 0
		.amdhsa_enable_private_segment 0
		.amdhsa_system_sgpr_workgroup_id_x 1
		.amdhsa_system_sgpr_workgroup_id_y 0
		.amdhsa_system_sgpr_workgroup_id_z 0
		.amdhsa_system_sgpr_workgroup_info 0
		.amdhsa_system_vgpr_workitem_id 0
		.amdhsa_next_free_vgpr 16
		.amdhsa_next_free_sgpr 16
		.amdhsa_reserve_vcc 1
		.amdhsa_float_round_mode_32 0
		.amdhsa_float_round_mode_16_64 0
		.amdhsa_float_denorm_mode_32 3
		.amdhsa_float_denorm_mode_16_64 3
		.amdhsa_dx10_clamp 1
		.amdhsa_ieee_mode 1
		.amdhsa_fp16_overflow 0
		.amdhsa_workgroup_processor_mode 1
		.amdhsa_memory_ordered 1
		.amdhsa_forward_progress 0
		.amdhsa_shared_vgpr_count 0
		.amdhsa_exception_fp_ieee_invalid_op 0
		.amdhsa_exception_fp_denorm_src 0
		.amdhsa_exception_fp_ieee_div_zero 0
		.amdhsa_exception_fp_ieee_overflow 0
		.amdhsa_exception_fp_ieee_underflow 0
		.amdhsa_exception_fp_ieee_inexact 0
		.amdhsa_exception_int_div_zero 0
	.end_amdhsa_kernel
	.section	.text._Z11rank_kernelILj102ELj3ELj3ELb1EL18RadixRankAlgorithm0EtEvPKT4_Pijj,"axG",@progbits,_Z11rank_kernelILj102ELj3ELj3ELb1EL18RadixRankAlgorithm0EtEvPKT4_Pijj,comdat
.Lfunc_end4:
	.size	_Z11rank_kernelILj102ELj3ELj3ELb1EL18RadixRankAlgorithm0EtEvPKT4_Pijj, .Lfunc_end4-_Z11rank_kernelILj102ELj3ELj3ELb1EL18RadixRankAlgorithm0EtEvPKT4_Pijj
                                        ; -- End function
	.section	.AMDGPU.csdata,"",@progbits
; Kernel info:
; codeLenInByte = 1224
; NumSgprs: 18
; NumVgprs: 16
; ScratchSize: 0
; MemoryBound: 0
; FloatMode: 240
; IeeeMode: 1
; LDSByteSize: 1648 bytes/workgroup (compile time only)
; SGPRBlocks: 2
; VGPRBlocks: 1
; NumSGPRsForWavesPerEU: 18
; NumVGPRsForWavesPerEU: 16
; Occupancy: 16
; WaveLimiterHint : 0
; COMPUTE_PGM_RSRC2:SCRATCH_EN: 0
; COMPUTE_PGM_RSRC2:USER_SGPR: 15
; COMPUTE_PGM_RSRC2:TRAP_HANDLER: 0
; COMPUTE_PGM_RSRC2:TGID_X_EN: 1
; COMPUTE_PGM_RSRC2:TGID_Y_EN: 0
; COMPUTE_PGM_RSRC2:TGID_Z_EN: 0
; COMPUTE_PGM_RSRC2:TIDIG_COMP_CNT: 0
	.section	.text._Z11rank_kernelILj64ELj1ELj5ELb0EL18RadixRankAlgorithm0EyEvPKT4_Pijj,"axG",@progbits,_Z11rank_kernelILj64ELj1ELj5ELb0EL18RadixRankAlgorithm0EyEvPKT4_Pijj,comdat
	.protected	_Z11rank_kernelILj64ELj1ELj5ELb0EL18RadixRankAlgorithm0EyEvPKT4_Pijj ; -- Begin function _Z11rank_kernelILj64ELj1ELj5ELb0EL18RadixRankAlgorithm0EyEvPKT4_Pijj
	.globl	_Z11rank_kernelILj64ELj1ELj5ELb0EL18RadixRankAlgorithm0EyEvPKT4_Pijj
	.p2align	8
	.type	_Z11rank_kernelILj64ELj1ELj5ELb0EL18RadixRankAlgorithm0EyEvPKT4_Pijj,@function
_Z11rank_kernelILj64ELj1ELj5ELb0EL18RadixRankAlgorithm0EyEvPKT4_Pijj: ; @_Z11rank_kernelILj64ELj1ELj5ELb0EL18RadixRankAlgorithm0EyEvPKT4_Pijj
; %bb.0:
	s_load_b128 s[4:7], s[0:1], 0x0
	s_lshl_b32 s2, s15, 6
	s_mov_b32 s3, 0
	v_lshlrev_b32_e32 v1, 3, v0
	s_lshl_b64 s[8:9], s[2:3], 3
	v_dual_mov_b32 v3, 0 :: v_dual_lshlrev_b32 v4, 2, v0
	v_or_b32_e32 v5, 0xffffffc0, v0
	s_waitcnt lgkmcnt(0)
	s_add_u32 s4, s4, s8
	s_addc_u32 s5, s5, s9
	global_load_b64 v[1:2], v1, s[4:5]
	s_mov_b32 s4, s3
.LBB5_1:                                ; =>This Inner Loop Header: Depth=1
	v_add_nc_u32_e32 v5, 64, v5
	ds_store_b32 v4, v3
	v_add_nc_u32_e32 v4, 0x100, v4
	v_cmp_lt_u32_e32 vcc_lo, 0x3bf, v5
	s_or_b32 s4, vcc_lo, s4
	s_delay_alu instid0(SALU_CYCLE_1)
	s_and_not1_b32 exec_lo, exec_lo, s4
	s_cbranch_execnz .LBB5_1
; %bb.2:
	s_or_b32 exec_lo, exec_lo, s4
	s_load_b64 s[0:1], s[0:1], 0x10
	v_mov_b32_e32 v3, 0
	s_waitcnt lgkmcnt(0)
	s_and_b32 s1, s1, 63
	s_delay_alu instid0(SALU_CYCLE_1)
	s_cmp_eq_u32 s1, 0
	s_cbranch_scc1 .LBB5_4
; %bb.3:
	s_and_b32 s0, s0, 63
	s_delay_alu instid0(SALU_CYCLE_1) | instskip(NEXT) | instid1(SALU_CYCLE_1)
	s_add_i32 s0, s0, s1
	s_sub_i32 s0, 64, s0
	s_waitcnt vmcnt(0)
	v_lshlrev_b64 v[1:2], s0, v[1:2]
	s_sub_i32 s0, 64, s1
	s_delay_alu instid0(VALU_DEP_1) | instid1(SALU_CYCLE_1)
	v_lshrrev_b64 v[3:4], s0, v[1:2]
.LBB5_4:
	s_waitcnt vmcnt(0)
	s_delay_alu instid0(VALU_DEP_1) | instskip(SKIP_3) | instid1(VALU_DEP_3)
	v_lshlrev_b32_e32 v1, 6, v3
	v_lshrrev_b32_e32 v2, 4, v3
	v_lshlrev_b32_e32 v3, 6, v0
	s_mov_b32 s0, exec_lo
	v_and_or_b32 v1, 0x3c0, v1, v0
	s_delay_alu instid0(VALU_DEP_1) | instskip(NEXT) | instid1(VALU_DEP_1)
	v_lshlrev_b32_e32 v1, 1, v1
	v_add_lshl_u32 v1, v1, v2, 1
	ds_load_u16 v2, v1
	s_waitcnt lgkmcnt(0)
	v_add_nc_u16 v4, v2, 1
	ds_store_b16 v1, v4
	s_waitcnt lgkmcnt(0)
	s_barrier
	buffer_gl0_inv
	ds_load_2addr_b32 v[4:5], v3 offset1:1
	ds_load_2addr_b32 v[6:7], v3 offset0:2 offset1:3
	ds_load_2addr_b32 v[8:9], v3 offset0:4 offset1:5
	;; [unrolled: 1-line block ×3, first 2 shown]
	s_waitcnt lgkmcnt(3)
	v_add_nc_u32_e32 v12, v5, v4
	ds_load_2addr_b32 v[4:5], v3 offset0:8 offset1:9
	s_waitcnt lgkmcnt(3)
	v_add3_u32 v12, v12, v6, v7
	ds_load_2addr_b32 v[6:7], v3 offset0:10 offset1:11
	s_waitcnt lgkmcnt(3)
	v_add3_u32 v14, v12, v8, v9
	ds_load_2addr_b32 v[8:9], v3 offset0:12 offset1:13
	ds_load_2addr_b32 v[12:13], v3 offset0:14 offset1:15
	s_waitcnt lgkmcnt(4)
	v_add3_u32 v10, v14, v10, v11
	s_waitcnt lgkmcnt(3)
	s_delay_alu instid0(VALU_DEP_1) | instskip(SKIP_2) | instid1(VALU_DEP_2)
	v_add3_u32 v4, v10, v4, v5
	v_mbcnt_lo_u32_b32 v5, -1, 0
	s_waitcnt lgkmcnt(2)
	v_add3_u32 v4, v4, v6, v7
	s_delay_alu instid0(VALU_DEP_2) | instskip(SKIP_1) | instid1(VALU_DEP_2)
	v_and_b32_e32 v6, 15, v5
	s_waitcnt lgkmcnt(1)
	v_add3_u32 v4, v4, v8, v9
	s_delay_alu instid0(VALU_DEP_2) | instskip(SKIP_2) | instid1(VALU_DEP_3)
	v_cmp_ne_u32_e32 vcc_lo, 0, v6
	v_or_b32_e32 v8, 31, v0
	s_waitcnt lgkmcnt(0)
	v_add3_u32 v4, v4, v12, v13
	s_delay_alu instid0(VALU_DEP_1) | instskip(NEXT) | instid1(VALU_DEP_1)
	v_mov_b32_dpp v7, v4 row_shr:1 row_mask:0xf bank_mask:0xf
	v_cndmask_b32_e32 v7, 0, v7, vcc_lo
	v_cmp_lt_u32_e32 vcc_lo, 1, v6
	s_delay_alu instid0(VALU_DEP_2) | instskip(NEXT) | instid1(VALU_DEP_1)
	v_add_nc_u32_e32 v4, v7, v4
	v_mov_b32_dpp v7, v4 row_shr:2 row_mask:0xf bank_mask:0xf
	s_delay_alu instid0(VALU_DEP_1) | instskip(SKIP_1) | instid1(VALU_DEP_2)
	v_cndmask_b32_e32 v7, 0, v7, vcc_lo
	v_cmp_lt_u32_e32 vcc_lo, 3, v6
	v_add_nc_u32_e32 v4, v4, v7
	s_delay_alu instid0(VALU_DEP_1) | instskip(NEXT) | instid1(VALU_DEP_1)
	v_mov_b32_dpp v7, v4 row_shr:4 row_mask:0xf bank_mask:0xf
	v_cndmask_b32_e32 v7, 0, v7, vcc_lo
	v_cmp_lt_u32_e32 vcc_lo, 7, v6
	s_delay_alu instid0(VALU_DEP_2) | instskip(NEXT) | instid1(VALU_DEP_1)
	v_add_nc_u32_e32 v4, v4, v7
	v_mov_b32_dpp v7, v4 row_shr:8 row_mask:0xf bank_mask:0xf
	s_delay_alu instid0(VALU_DEP_1) | instskip(SKIP_1) | instid1(VALU_DEP_2)
	v_cndmask_b32_e32 v6, 0, v7, vcc_lo
	v_bfe_i32 v7, v5, 4, 1
	v_add_nc_u32_e32 v4, v4, v6
	ds_swizzle_b32 v6, v4 offset:swizzle(BROADCAST,32,15)
	s_waitcnt lgkmcnt(0)
	v_and_b32_e32 v6, v7, v6
	v_lshrrev_b32_e32 v7, 5, v0
	s_delay_alu instid0(VALU_DEP_2) | instskip(NEXT) | instid1(VALU_DEP_2)
	v_add_nc_u32_e32 v6, v4, v6
	v_lshlrev_b32_e32 v7, 2, v7
	v_cmpx_eq_u32_e64 v8, v0
	s_cbranch_execz .LBB5_6
; %bb.5:
	ds_store_b32 v7, v6 offset:4096
.LBB5_6:
	s_or_b32 exec_lo, exec_lo, s0
	v_lshlrev_b32_e32 v4, 2, v0
	s_mov_b32 s0, exec_lo
	s_waitcnt lgkmcnt(0)
	s_barrier
	buffer_gl0_inv
	v_cmpx_gt_u32_e32 2, v0
	s_cbranch_execz .LBB5_8
; %bb.7:
	ds_load_b32 v8, v4 offset:4096
	v_bfe_i32 v9, v5, 0, 1
	s_waitcnt lgkmcnt(0)
	v_mov_b32_dpp v10, v8 row_shr:1 row_mask:0xf bank_mask:0xf
	s_delay_alu instid0(VALU_DEP_1) | instskip(NEXT) | instid1(VALU_DEP_1)
	v_and_b32_e32 v9, v9, v10
	v_add_nc_u32_e32 v8, v9, v8
	ds_store_b32 v4, v8 offset:4096
.LBB5_8:
	s_or_b32 exec_lo, exec_lo, s0
	v_cmp_lt_u32_e32 vcc_lo, 31, v0
	v_mov_b32_e32 v8, 0
	v_mov_b32_e32 v0, 0
	s_waitcnt lgkmcnt(0)
	s_barrier
	buffer_gl0_inv
	s_and_saveexec_b32 s0, vcc_lo
	s_cbranch_execz .LBB5_10
; %bb.9:
	ds_load_b32 v0, v7 offset:4092
.LBB5_10:
	s_or_b32 exec_lo, exec_lo, s0
	v_add_nc_u32_e32 v7, -1, v5
	s_lshl_b64 s[0:1], s[2:3], 2
	s_waitcnt lgkmcnt(0)
	v_add_nc_u32_e32 v6, v0, v6
	s_add_u32 s0, s6, s0
	s_addc_u32 s1, s7, s1
	v_cmp_gt_i32_e32 vcc_lo, 0, v7
	v_cndmask_b32_e32 v7, v7, v5, vcc_lo
	v_cmp_eq_u32_e32 vcc_lo, 0, v5
	s_delay_alu instid0(VALU_DEP_2)
	v_lshlrev_b32_e32 v7, 2, v7
	ds_bpermute_b32 v9, v7, v6
	ds_load_b32 v10, v8 offset:4100
	ds_load_2addr_b32 v[6:7], v3 offset1:1
	s_waitcnt lgkmcnt(2)
	v_cndmask_b32_e32 v0, v9, v0, vcc_lo
	ds_load_2addr_b32 v[8:9], v3 offset0:2 offset1:3
	s_waitcnt lgkmcnt(2)
	v_lshl_add_u32 v0, v10, 16, v0
	ds_load_2addr_b32 v[10:11], v3 offset0:4 offset1:5
	ds_load_2addr_b32 v[12:13], v3 offset0:6 offset1:7
	s_waitcnt lgkmcnt(3)
	v_add_nc_u32_e32 v14, v0, v6
	ds_load_2addr_b32 v[5:6], v3 offset0:8 offset1:9
	v_add_nc_u32_e32 v15, v7, v14
	s_waitcnt lgkmcnt(3)
	s_delay_alu instid0(VALU_DEP_1) | instskip(SKIP_3) | instid1(VALU_DEP_1)
	v_add_nc_u32_e32 v16, v8, v15
	ds_load_2addr_b32 v[7:8], v3 offset0:10 offset1:11
	v_add_nc_u32_e32 v17, v9, v16
	s_waitcnt lgkmcnt(3)
	v_add_nc_u32_e32 v18, v10, v17
	ds_load_2addr_b32 v[9:10], v3 offset0:12 offset1:13
	ds_load_b32 v19, v3 offset:56
	v_add_nc_u32_e32 v11, v11, v18
	s_waitcnt lgkmcnt(4)
	s_delay_alu instid0(VALU_DEP_1) | instskip(NEXT) | instid1(VALU_DEP_1)
	v_add_nc_u32_e32 v12, v12, v11
	v_add_nc_u32_e32 v13, v13, v12
	s_waitcnt lgkmcnt(3)
	s_delay_alu instid0(VALU_DEP_1) | instskip(NEXT) | instid1(VALU_DEP_1)
	v_add_nc_u32_e32 v5, v5, v13
	;; [unrolled: 4-line block ×4, first 2 shown]
	v_add_nc_u32_e32 v10, v10, v9
	s_waitcnt lgkmcnt(0)
	s_delay_alu instid0(VALU_DEP_1)
	v_add_nc_u32_e32 v19, v19, v10
	ds_store_2addr_b32 v3, v0, v14 offset1:1
	ds_store_2addr_b32 v3, v15, v16 offset0:2 offset1:3
	ds_store_2addr_b32 v3, v17, v18 offset0:4 offset1:5
	;; [unrolled: 1-line block ×7, first 2 shown]
	s_waitcnt lgkmcnt(0)
	s_barrier
	buffer_gl0_inv
	ds_load_u16 v0, v1
	v_and_b32_e32 v1, 0xffff, v2
	s_waitcnt lgkmcnt(0)
	s_delay_alu instid0(VALU_DEP_1)
	v_add_nc_u32_e32 v0, v0, v1
	global_store_b32 v4, v0, s[0:1]
	s_nop 0
	s_sendmsg sendmsg(MSG_DEALLOC_VGPRS)
	s_endpgm
	.section	.rodata,"a",@progbits
	.p2align	6, 0x0
	.amdhsa_kernel _Z11rank_kernelILj64ELj1ELj5ELb0EL18RadixRankAlgorithm0EyEvPKT4_Pijj
		.amdhsa_group_segment_fixed_size 4112
		.amdhsa_private_segment_fixed_size 0
		.amdhsa_kernarg_size 24
		.amdhsa_user_sgpr_count 15
		.amdhsa_user_sgpr_dispatch_ptr 0
		.amdhsa_user_sgpr_queue_ptr 0
		.amdhsa_user_sgpr_kernarg_segment_ptr 1
		.amdhsa_user_sgpr_dispatch_id 0
		.amdhsa_user_sgpr_private_segment_size 0
		.amdhsa_wavefront_size32 1
		.amdhsa_uses_dynamic_stack 0
		.amdhsa_enable_private_segment 0
		.amdhsa_system_sgpr_workgroup_id_x 1
		.amdhsa_system_sgpr_workgroup_id_y 0
		.amdhsa_system_sgpr_workgroup_id_z 0
		.amdhsa_system_sgpr_workgroup_info 0
		.amdhsa_system_vgpr_workitem_id 0
		.amdhsa_next_free_vgpr 20
		.amdhsa_next_free_sgpr 16
		.amdhsa_reserve_vcc 1
		.amdhsa_float_round_mode_32 0
		.amdhsa_float_round_mode_16_64 0
		.amdhsa_float_denorm_mode_32 3
		.amdhsa_float_denorm_mode_16_64 3
		.amdhsa_dx10_clamp 1
		.amdhsa_ieee_mode 1
		.amdhsa_fp16_overflow 0
		.amdhsa_workgroup_processor_mode 1
		.amdhsa_memory_ordered 1
		.amdhsa_forward_progress 0
		.amdhsa_shared_vgpr_count 0
		.amdhsa_exception_fp_ieee_invalid_op 0
		.amdhsa_exception_fp_denorm_src 0
		.amdhsa_exception_fp_ieee_div_zero 0
		.amdhsa_exception_fp_ieee_overflow 0
		.amdhsa_exception_fp_ieee_underflow 0
		.amdhsa_exception_fp_ieee_inexact 0
		.amdhsa_exception_int_div_zero 0
	.end_amdhsa_kernel
	.section	.text._Z11rank_kernelILj64ELj1ELj5ELb0EL18RadixRankAlgorithm0EyEvPKT4_Pijj,"axG",@progbits,_Z11rank_kernelILj64ELj1ELj5ELb0EL18RadixRankAlgorithm0EyEvPKT4_Pijj,comdat
.Lfunc_end5:
	.size	_Z11rank_kernelILj64ELj1ELj5ELb0EL18RadixRankAlgorithm0EyEvPKT4_Pijj, .Lfunc_end5-_Z11rank_kernelILj64ELj1ELj5ELb0EL18RadixRankAlgorithm0EyEvPKT4_Pijj
                                        ; -- End function
	.section	.AMDGPU.csdata,"",@progbits
; Kernel info:
; codeLenInByte = 1156
; NumSgprs: 18
; NumVgprs: 20
; ScratchSize: 0
; MemoryBound: 0
; FloatMode: 240
; IeeeMode: 1
; LDSByteSize: 4112 bytes/workgroup (compile time only)
; SGPRBlocks: 2
; VGPRBlocks: 2
; NumSGPRsForWavesPerEU: 18
; NumVGPRsForWavesPerEU: 20
; Occupancy: 16
; WaveLimiterHint : 0
; COMPUTE_PGM_RSRC2:SCRATCH_EN: 0
; COMPUTE_PGM_RSRC2:USER_SGPR: 15
; COMPUTE_PGM_RSRC2:TRAP_HANDLER: 0
; COMPUTE_PGM_RSRC2:TGID_X_EN: 1
; COMPUTE_PGM_RSRC2:TGID_Y_EN: 0
; COMPUTE_PGM_RSRC2:TGID_Z_EN: 0
; COMPUTE_PGM_RSRC2:TIDIG_COMP_CNT: 0
	.section	.text._Z11rank_kernelILj234ELj9ELj4ELb0EL18RadixRankAlgorithm0E12hip_bfloat16EvPKT4_Pijj,"axG",@progbits,_Z11rank_kernelILj234ELj9ELj4ELb0EL18RadixRankAlgorithm0E12hip_bfloat16EvPKT4_Pijj,comdat
	.protected	_Z11rank_kernelILj234ELj9ELj4ELb0EL18RadixRankAlgorithm0E12hip_bfloat16EvPKT4_Pijj ; -- Begin function _Z11rank_kernelILj234ELj9ELj4ELb0EL18RadixRankAlgorithm0E12hip_bfloat16EvPKT4_Pijj
	.globl	_Z11rank_kernelILj234ELj9ELj4ELb0EL18RadixRankAlgorithm0E12hip_bfloat16EvPKT4_Pijj
	.p2align	8
	.type	_Z11rank_kernelILj234ELj9ELj4ELb0EL18RadixRankAlgorithm0E12hip_bfloat16EvPKT4_Pijj,@function
_Z11rank_kernelILj234ELj9ELj4ELb0EL18RadixRankAlgorithm0E12hip_bfloat16EvPKT4_Pijj: ; @_Z11rank_kernelILj234ELj9ELj4ELb0EL18RadixRankAlgorithm0E12hip_bfloat16EvPKT4_Pijj
; %bb.0:
	s_load_b128 s[4:7], s[0:1], 0x0
	v_mul_u32_u24_e32 v5, 9, v0
	s_mov_b32 s3, 0
	s_mul_i32 s2, s15, 0x83a
	v_add_nc_u32_e32 v8, 0xffffff16, v0
	s_lshl_b64 s[8:9], s[2:3], 1
	v_lshlrev_b32_e32 v6, 1, v5
	v_lshlrev_b32_e32 v7, 2, v0
	s_waitcnt lgkmcnt(0)
	s_add_u32 s4, s4, s8
	s_addc_u32 s5, s5, s9
	s_clause 0x1
	global_load_b128 v[1:4], v6, s[4:5]
	global_load_u16 v13, v6, s[4:5] offset:16
	v_mov_b32_e32 v6, 0
	s_mov_b32 s4, s3
.LBB6_1:                                ; =>This Inner Loop Header: Depth=1
	v_add_nc_u32_e32 v8, 0xea, v8
	ds_store_b32 v7, v6
	v_add_nc_u32_e32 v7, 0x3a8, v7
	v_cmp_lt_u32_e32 vcc_lo, 0x665, v8
	s_or_b32 s4, vcc_lo, s4
	s_delay_alu instid0(SALU_CYCLE_1)
	s_and_not1_b32 exec_lo, exec_lo, s4
	s_cbranch_execnz .LBB6_1
; %bb.2:
	s_or_b32 exec_lo, exec_lo, s4
	s_load_b64 s[0:1], s[0:1], 0x10
	s_waitcnt vmcnt(1)
	v_cmp_lt_i16_e32 vcc_lo, -1, v1
	v_cndmask_b32_e64 v6, -1, 0xffff8000, vcc_lo
	s_delay_alu instid0(VALU_DEP_1) | instskip(SKIP_1) | instid1(VALU_DEP_2)
	v_xor_b32_e32 v6, v6, v1
	v_lshrrev_b32_e32 v1, 16, v1
	v_cmp_ne_u16_e32 vcc_lo, 0x7fff, v6
	s_waitcnt lgkmcnt(0)
	s_and_b32 s1, s1, 31
	v_cndmask_b32_e32 v6, 0xffff8000, v6, vcc_lo
	s_cmp_eq_u32 s1, 0
	v_cmp_lt_i16_e32 vcc_lo, -1, v1
	s_cselect_b32 s4, -1, 0
	s_and_b32 s0, s0, 31
	v_and_b32_e32 v6, 0xffff, v6
	s_add_i32 s0, s0, s1
	v_cndmask_b32_e64 v7, -1, 0xffff8000, vcc_lo
	s_sub_i32 s0, 32, s0
	s_sub_i32 s1, 32, s1
	v_lshlrev_b32_e32 v6, s0, v6
	s_delay_alu instid0(VALU_DEP_2) | instskip(NEXT) | instid1(VALU_DEP_2)
	v_xor_b32_e32 v1, v7, v1
	v_bfe_u32 v6, v6, s1, 16
	s_delay_alu instid0(VALU_DEP_2) | instskip(NEXT) | instid1(VALU_DEP_2)
	v_cmp_ne_u16_e32 vcc_lo, 0x7fff, v1
	v_cndmask_b32_e64 v6, v6, 0, s4
	v_cndmask_b32_e32 v1, 0xffff8000, v1, vcc_lo
	v_cmp_lt_i16_e32 vcc_lo, -1, v2
	s_delay_alu instid0(VALU_DEP_3) | instskip(SKIP_1) | instid1(VALU_DEP_4)
	v_and_b32_e32 v7, 7, v6
	v_lshrrev_b32_e32 v6, 3, v6
	v_and_b32_e32 v1, 0xffff, v1
	v_cndmask_b32_e64 v8, -1, 0xffff8000, vcc_lo
	s_delay_alu instid0(VALU_DEP_4) | instskip(NEXT) | instid1(VALU_DEP_3)
	v_mul_u32_u24_e32 v7, 0xea, v7
	v_lshlrev_b32_e32 v1, s0, v1
	s_delay_alu instid0(VALU_DEP_2) | instskip(NEXT) | instid1(VALU_DEP_2)
	v_add_lshl_u32 v7, v7, v0, 1
	v_bfe_u32 v9, v1, s1, 16
	s_delay_alu instid0(VALU_DEP_2) | instskip(SKIP_1) | instid1(VALU_DEP_3)
	v_add_lshl_u32 v1, v7, v6, 1
	v_xor_b32_e32 v7, v8, v2
	v_cndmask_b32_e64 v8, v9, 0, s4
	v_lshrrev_b32_e32 v2, 16, v2
	ds_load_u16 v6, v1
	v_cmp_ne_u16_e32 vcc_lo, 0x7fff, v7
	v_and_b32_e32 v9, 7, v8
	v_lshrrev_b32_e32 v8, 3, v8
	v_cndmask_b32_e32 v7, 0xffff8000, v7, vcc_lo
	s_delay_alu instid0(VALU_DEP_3) | instskip(SKIP_1) | instid1(VALU_DEP_3)
	v_mul_u32_u24_e32 v9, 0xea, v9
	v_cmp_lt_i16_e32 vcc_lo, -1, v2
	v_and_b32_e32 v7, 0xffff, v7
	s_delay_alu instid0(VALU_DEP_3) | instskip(SKIP_1) | instid1(VALU_DEP_3)
	v_add_lshl_u32 v9, v9, v0, 1
	v_cndmask_b32_e64 v10, -1, 0xffff8000, vcc_lo
	v_lshlrev_b32_e32 v7, s0, v7
	s_waitcnt lgkmcnt(0)
	v_add_nc_u16 v12, v6, 1
	s_delay_alu instid0(VALU_DEP_2)
	v_bfe_u32 v11, v7, s1, 16
	v_add_lshl_u32 v7, v9, v8, 1
	v_xor_b32_e32 v8, v10, v2
	ds_store_b16 v1, v12
	v_cndmask_b32_e64 v9, v11, 0, s4
	ds_load_u16 v2, v7
	v_cmp_ne_u16_e32 vcc_lo, 0x7fff, v8
	v_and_b32_e32 v10, 7, v9
	v_lshrrev_b32_e32 v9, 3, v9
	v_cndmask_b32_e32 v8, 0xffff8000, v8, vcc_lo
	v_cmp_lt_i16_e32 vcc_lo, -1, v3
	s_delay_alu instid0(VALU_DEP_4) | instskip(NEXT) | instid1(VALU_DEP_3)
	v_mul_u32_u24_e32 v10, 0xea, v10
	v_and_b32_e32 v8, 0xffff, v8
	v_cndmask_b32_e64 v11, -1, 0xffff8000, vcc_lo
	s_delay_alu instid0(VALU_DEP_3) | instskip(NEXT) | instid1(VALU_DEP_3)
	v_add_lshl_u32 v10, v10, v0, 1
	v_lshlrev_b32_e32 v8, s0, v8
	s_delay_alu instid0(VALU_DEP_2) | instskip(SKIP_2) | instid1(VALU_DEP_3)
	v_add_lshl_u32 v9, v10, v9, 1
	s_waitcnt lgkmcnt(0)
	v_add_nc_u16 v10, v2, 1
	v_bfe_u32 v8, v8, s1, 16
	ds_store_b16 v7, v10
	v_xor_b32_e32 v10, v11, v3
	v_cndmask_b32_e64 v12, v8, 0, s4
	ds_load_u16 v8, v9
	v_lshrrev_b32_e32 v3, 16, v3
	v_cmp_ne_u16_e32 vcc_lo, 0x7fff, v10
	v_and_b32_e32 v11, 7, v12
	v_lshrrev_b32_e32 v12, 3, v12
	v_cndmask_b32_e32 v10, 0xffff8000, v10, vcc_lo
	s_delay_alu instid0(VALU_DEP_3) | instskip(SKIP_1) | instid1(VALU_DEP_3)
	v_mul_u32_u24_e32 v11, 0xea, v11
	v_cmp_lt_i16_e32 vcc_lo, -1, v3
	v_and_b32_e32 v10, 0xffff, v10
	s_delay_alu instid0(VALU_DEP_3) | instskip(SKIP_1) | instid1(VALU_DEP_3)
	v_add_lshl_u32 v11, v11, v0, 1
	v_cndmask_b32_e64 v15, -1, 0xffff8000, vcc_lo
	v_lshlrev_b32_e32 v14, s0, v10
	s_delay_alu instid0(VALU_DEP_3)
	v_add_lshl_u32 v10, v11, v12, 1
	s_waitcnt lgkmcnt(0)
	v_add_nc_u16 v16, v8, 1
	v_xor_b32_e32 v12, v15, v3
	v_bfe_u32 v11, v14, s1, 16
	ds_store_b16 v9, v16
	ds_load_u16 v3, v10
	v_cmp_ne_u16_e32 vcc_lo, 0x7fff, v12
	v_cndmask_b32_e64 v11, v11, 0, s4
	v_cndmask_b32_e32 v12, 0xffff8000, v12, vcc_lo
	s_delay_alu instid0(VALU_DEP_2) | instskip(SKIP_2) | instid1(VALU_DEP_4)
	v_and_b32_e32 v14, 7, v11
	v_cmp_lt_i16_e32 vcc_lo, -1, v4
	v_lshrrev_b32_e32 v11, 3, v11
	v_and_b32_e32 v12, 0xffff, v12
	s_delay_alu instid0(VALU_DEP_4) | instskip(SKIP_1) | instid1(VALU_DEP_3)
	v_mul_u32_u24_e32 v14, 0xea, v14
	v_cndmask_b32_e64 v15, -1, 0xffff8000, vcc_lo
	v_lshlrev_b32_e32 v12, s0, v12
	s_delay_alu instid0(VALU_DEP_3) | instskip(SKIP_2) | instid1(VALU_DEP_3)
	v_add_lshl_u32 v14, v14, v0, 1
	s_waitcnt lgkmcnt(0)
	v_add_nc_u16 v17, v3, 1
	v_bfe_u32 v16, v12, s1, 16
	s_delay_alu instid0(VALU_DEP_3)
	v_add_lshl_u32 v12, v14, v11, 1
	v_xor_b32_e32 v14, v15, v4
	v_lshrrev_b32_e32 v4, 16, v4
	ds_store_b16 v10, v17
	v_cndmask_b32_e64 v15, v16, 0, s4
	ds_load_u16 v11, v12
	v_cmp_ne_u16_e32 vcc_lo, 0x7fff, v14
	v_and_b32_e32 v16, 7, v15
	v_lshrrev_b32_e32 v15, 3, v15
	v_cndmask_b32_e32 v14, 0xffff8000, v14, vcc_lo
	v_cmp_lt_i16_e32 vcc_lo, -1, v4
	s_delay_alu instid0(VALU_DEP_4) | instskip(NEXT) | instid1(VALU_DEP_3)
	v_mul_u32_u24_e32 v16, 0xea, v16
	v_and_b32_e32 v14, 0xffff, v14
	v_cndmask_b32_e64 v17, -1, 0xffff8000, vcc_lo
	s_delay_alu instid0(VALU_DEP_3) | instskip(NEXT) | instid1(VALU_DEP_3)
	v_add_lshl_u32 v16, v16, v0, 1
	v_lshlrev_b32_e32 v14, s0, v14
	s_waitcnt lgkmcnt(0)
	v_add_nc_u16 v19, v11, 1
	s_delay_alu instid0(VALU_DEP_2)
	v_bfe_u32 v18, v14, s1, 16
	v_add_lshl_u32 v14, v16, v15, 1
	v_xor_b32_e32 v15, v17, v4
	ds_store_b16 v12, v19
	v_cndmask_b32_e64 v16, v18, 0, s4
	ds_load_u16 v4, v14
	v_cmp_ne_u16_e32 vcc_lo, 0x7fff, v15
	v_and_b32_e32 v17, 7, v16
	v_lshrrev_b32_e32 v16, 3, v16
	v_cndmask_b32_e32 v15, 0xffff8000, v15, vcc_lo
	s_waitcnt vmcnt(0)
	v_cmp_lt_i16_e32 vcc_lo, -1, v13
	v_mul_u32_u24_e32 v17, 0xea, v17
	s_delay_alu instid0(VALU_DEP_3) | instskip(SKIP_1) | instid1(VALU_DEP_3)
	v_and_b32_e32 v15, 0xffff, v15
	v_cndmask_b32_e64 v18, -1, 0xffff8000, vcc_lo
	v_add_lshl_u32 v17, v17, v0, 1
	s_delay_alu instid0(VALU_DEP_3) | instskip(NEXT) | instid1(VALU_DEP_3)
	v_lshlrev_b32_e32 v15, s0, v15
	v_xor_b32_e32 v13, v18, v13
	s_delay_alu instid0(VALU_DEP_3)
	v_add_lshl_u32 v16, v17, v16, 1
	s_waitcnt lgkmcnt(0)
	v_add_nc_u16 v17, v4, 1
	v_bfe_u32 v15, v15, s1, 16
	v_cmp_ne_u16_e32 vcc_lo, 0x7fff, v13
	ds_store_b16 v14, v17
	v_cndmask_b32_e64 v19, v15, 0, s4
	ds_load_u16 v15, v16
	v_cndmask_b32_e32 v13, 0xffff8000, v13, vcc_lo
	v_and_b32_e32 v17, 7, v19
	v_lshrrev_b32_e32 v18, 3, v19
	s_delay_alu instid0(VALU_DEP_3) | instskip(NEXT) | instid1(VALU_DEP_3)
	v_and_b32_e32 v13, 0xffff, v13
	v_mul_u32_u24_e32 v17, 0xea, v17
	s_delay_alu instid0(VALU_DEP_2) | instskip(SKIP_1) | instid1(VALU_DEP_2)
	v_lshlrev_b32_e32 v13, s0, v13
	s_mov_b32 s0, exec_lo
	v_add_lshl_u32 v17, v17, v0, 1
	s_delay_alu instid0(VALU_DEP_1)
	v_add_lshl_u32 v17, v17, v18, 1
	s_waitcnt lgkmcnt(0)
	v_add_nc_u16 v19, v15, 1
	v_bfe_u32 v18, v13, s1, 16
	ds_store_b16 v16, v19
	ds_load_u16 v13, v17
	v_cndmask_b32_e64 v18, v18, 0, s4
	s_delay_alu instid0(VALU_DEP_1) | instskip(SKIP_1) | instid1(VALU_DEP_2)
	v_and_b32_e32 v19, 7, v18
	v_lshrrev_b32_e32 v18, 3, v18
	v_mul_u32_u24_e32 v19, 0xea, v19
	s_delay_alu instid0(VALU_DEP_1) | instskip(SKIP_2) | instid1(VALU_DEP_2)
	v_add_lshl_u32 v19, v19, v0, 1
	s_waitcnt lgkmcnt(0)
	v_add_nc_u16 v20, v13, 1
	v_add_lshl_u32 v19, v19, v18, 1
	ds_store_b16 v17, v20
	v_lshlrev_b32_e32 v20, 5, v0
	ds_load_u16 v18, v19
	s_waitcnt lgkmcnt(0)
	v_add_nc_u16 v21, v18, 1
	ds_store_b16 v19, v21
	s_waitcnt lgkmcnt(0)
	s_barrier
	buffer_gl0_inv
	ds_load_2addr_b32 v[21:22], v20 offset1:1
	ds_load_2addr_b32 v[23:24], v20 offset0:2 offset1:3
	ds_load_2addr_b32 v[25:26], v20 offset0:4 offset1:5
	;; [unrolled: 1-line block ×3, first 2 shown]
	s_waitcnt lgkmcnt(3)
	v_add_nc_u32_e32 v21, v22, v21
	s_waitcnt lgkmcnt(2)
	s_delay_alu instid0(VALU_DEP_1) | instskip(SKIP_1) | instid1(VALU_DEP_1)
	v_add3_u32 v21, v21, v23, v24
	s_waitcnt lgkmcnt(1)
	v_add3_u32 v22, v21, v25, v26
	v_mbcnt_lo_u32_b32 v21, -1, 0
	s_waitcnt lgkmcnt(0)
	s_delay_alu instid0(VALU_DEP_2) | instskip(NEXT) | instid1(VALU_DEP_2)
	v_add3_u32 v22, v22, v27, v28
	v_and_b32_e32 v23, 15, v21
	v_bfe_i32 v25, v21, 4, 1
	s_delay_alu instid0(VALU_DEP_3) | instskip(NEXT) | instid1(VALU_DEP_3)
	v_mov_b32_dpp v24, v22 row_shr:1 row_mask:0xf bank_mask:0xf
	v_cmp_ne_u32_e32 vcc_lo, 0, v23
	s_delay_alu instid0(VALU_DEP_2) | instskip(SKIP_1) | instid1(VALU_DEP_2)
	v_cndmask_b32_e32 v24, 0, v24, vcc_lo
	v_cmp_lt_u32_e32 vcc_lo, 1, v23
	v_add_nc_u32_e32 v22, v24, v22
	s_delay_alu instid0(VALU_DEP_1) | instskip(NEXT) | instid1(VALU_DEP_1)
	v_mov_b32_dpp v24, v22 row_shr:2 row_mask:0xf bank_mask:0xf
	v_cndmask_b32_e32 v24, 0, v24, vcc_lo
	v_cmp_lt_u32_e32 vcc_lo, 3, v23
	s_delay_alu instid0(VALU_DEP_2) | instskip(NEXT) | instid1(VALU_DEP_1)
	v_add_nc_u32_e32 v22, v22, v24
	v_mov_b32_dpp v24, v22 row_shr:4 row_mask:0xf bank_mask:0xf
	s_delay_alu instid0(VALU_DEP_1) | instskip(SKIP_1) | instid1(VALU_DEP_2)
	v_cndmask_b32_e32 v24, 0, v24, vcc_lo
	v_cmp_lt_u32_e32 vcc_lo, 7, v23
	v_add_nc_u32_e32 v22, v22, v24
	s_delay_alu instid0(VALU_DEP_1) | instskip(NEXT) | instid1(VALU_DEP_1)
	v_mov_b32_dpp v24, v22 row_shr:8 row_mask:0xf bank_mask:0xf
	v_cndmask_b32_e32 v23, 0, v24, vcc_lo
	v_and_b32_e32 v24, 0xe0, v0
	s_delay_alu instid0(VALU_DEP_2) | instskip(NEXT) | instid1(VALU_DEP_2)
	v_add_nc_u32_e32 v22, v22, v23
	v_min_u32_e32 v24, 0xca, v24
	ds_swizzle_b32 v23, v22 offset:swizzle(BROADCAST,32,15)
	v_add_nc_u32_e32 v24, 31, v24
	s_waitcnt lgkmcnt(0)
	v_and_b32_e32 v23, v25, v23
	v_lshrrev_b32_e32 v25, 5, v0
	s_delay_alu instid0(VALU_DEP_2) | instskip(NEXT) | instid1(VALU_DEP_2)
	v_add_nc_u32_e32 v22, v22, v23
	v_lshlrev_b32_e32 v23, 2, v25
	v_cmpx_eq_u32_e64 v24, v0
	s_cbranch_execz .LBB6_4
; %bb.3:
	ds_store_b32 v23, v22 offset:7488
.LBB6_4:
	s_or_b32 exec_lo, exec_lo, s0
	s_delay_alu instid0(SALU_CYCLE_1)
	s_mov_b32 s0, exec_lo
	s_waitcnt lgkmcnt(0)
	s_barrier
	buffer_gl0_inv
	v_cmpx_gt_u32_e32 8, v0
	s_cbranch_execz .LBB6_6
; %bb.5:
	v_and_b32_e32 v26, 7, v21
	s_delay_alu instid0(VALU_DEP_1) | instskip(SKIP_4) | instid1(VALU_DEP_1)
	v_cmp_ne_u32_e32 vcc_lo, 0, v26
	v_lshlrev_b32_e32 v24, 2, v0
	ds_load_b32 v25, v24 offset:7488
	s_waitcnt lgkmcnt(0)
	v_mov_b32_dpp v27, v25 row_shr:1 row_mask:0xf bank_mask:0xf
	v_cndmask_b32_e32 v27, 0, v27, vcc_lo
	v_cmp_lt_u32_e32 vcc_lo, 1, v26
	s_delay_alu instid0(VALU_DEP_2) | instskip(NEXT) | instid1(VALU_DEP_1)
	v_add_nc_u32_e32 v25, v27, v25
	v_mov_b32_dpp v27, v25 row_shr:2 row_mask:0xf bank_mask:0xf
	s_delay_alu instid0(VALU_DEP_1) | instskip(SKIP_1) | instid1(VALU_DEP_2)
	v_cndmask_b32_e32 v27, 0, v27, vcc_lo
	v_cmp_lt_u32_e32 vcc_lo, 3, v26
	v_add_nc_u32_e32 v25, v25, v27
	s_delay_alu instid0(VALU_DEP_1) | instskip(NEXT) | instid1(VALU_DEP_1)
	v_mov_b32_dpp v27, v25 row_shr:4 row_mask:0xf bank_mask:0xf
	v_cndmask_b32_e32 v26, 0, v27, vcc_lo
	s_delay_alu instid0(VALU_DEP_1)
	v_add_nc_u32_e32 v25, v25, v26
	ds_store_b32 v24, v25 offset:7488
.LBB6_6:
	s_or_b32 exec_lo, exec_lo, s0
	v_cmp_lt_u32_e32 vcc_lo, 31, v0
	v_mov_b32_e32 v24, 0
	v_mov_b32_e32 v0, 0
	s_waitcnt lgkmcnt(0)
	s_barrier
	buffer_gl0_inv
	s_and_saveexec_b32 s0, vcc_lo
	s_cbranch_execz .LBB6_8
; %bb.7:
	ds_load_b32 v0, v23 offset:7484
.LBB6_8:
	s_or_b32 exec_lo, exec_lo, s0
	v_add_nc_u32_e32 v23, -1, v21
	v_and_b32_e32 v6, 0xffff, v6
	v_and_b32_e32 v2, 0xffff, v2
	;; [unrolled: 1-line block ×4, first 2 shown]
	v_cmp_gt_i32_e32 vcc_lo, 0, v23
	v_and_b32_e32 v11, 0xffff, v11
	v_and_b32_e32 v15, 0xffff, v15
	;; [unrolled: 1-line block ×3, first 2 shown]
	v_dual_cndmask_b32 v23, v23, v21 :: v_dual_and_b32 v18, 0xffff, v18
	s_waitcnt lgkmcnt(0)
	v_add_nc_u32_e32 v22, v0, v22
	v_cmp_eq_u32_e32 vcc_lo, 0, v21
	s_lshl_b64 s[0:1], s[2:3], 2
	s_delay_alu instid0(SALU_CYCLE_1)
	s_add_u32 s0, s6, s0
	v_lshlrev_b32_e32 v23, 2, v23
	s_addc_u32 s1, s7, s1
	ds_bpermute_b32 v25, v23, v22
	ds_load_b32 v26, v24 offset:7516
	ds_load_2addr_b32 v[22:23], v20 offset1:1
	s_waitcnt lgkmcnt(2)
	v_cndmask_b32_e32 v0, v25, v0, vcc_lo
	ds_load_2addr_b32 v[24:25], v20 offset0:2 offset1:3
	s_waitcnt lgkmcnt(2)
	v_lshl_add_u32 v0, v26, 16, v0
	ds_load_2addr_b32 v[26:27], v20 offset0:4 offset1:5
	ds_load_b32 v21, v20 offset:24
	s_waitcnt lgkmcnt(3)
	v_add_nc_u32_e32 v22, v0, v22
	s_delay_alu instid0(VALU_DEP_1) | instskip(SKIP_1) | instid1(VALU_DEP_1)
	v_add_nc_u32_e32 v23, v23, v22
	s_waitcnt lgkmcnt(2)
	v_add_nc_u32_e32 v24, v24, v23
	s_delay_alu instid0(VALU_DEP_1) | instskip(SKIP_1) | instid1(VALU_DEP_1)
	v_add_nc_u32_e32 v25, v25, v24
	;; [unrolled: 4-line block ×3, first 2 shown]
	s_waitcnt lgkmcnt(0)
	v_add_nc_u32_e32 v21, v21, v27
	ds_store_2addr_b32 v20, v0, v22 offset1:1
	ds_store_2addr_b32 v20, v23, v24 offset0:2 offset1:3
	ds_store_2addr_b32 v20, v25, v26 offset0:4 offset1:5
	;; [unrolled: 1-line block ×3, first 2 shown]
	s_waitcnt lgkmcnt(0)
	s_barrier
	buffer_gl0_inv
	ds_load_u16 v0, v1
	ds_load_u16 v1, v7
	;; [unrolled: 1-line block ×9, first 2 shown]
	v_and_b32_e32 v19, 0xffff, v4
	v_lshlrev_b32_e32 v20, 2, v5
	s_waitcnt lgkmcnt(8)
	v_add_nc_u32_e32 v0, v0, v6
	s_waitcnt lgkmcnt(7)
	v_add_nc_u32_e32 v1, v1, v2
	;; [unrolled: 2-line block ×9, first 2 shown]
	s_clause 0x2
	global_store_b128 v20, v[0:3], s[0:1]
	global_store_b128 v20, v[4:7], s[0:1] offset:16
	global_store_b32 v20, v8, s[0:1] offset:32
	s_nop 0
	s_sendmsg sendmsg(MSG_DEALLOC_VGPRS)
	s_endpgm
	.section	.rodata,"a",@progbits
	.p2align	6, 0x0
	.amdhsa_kernel _Z11rank_kernelILj234ELj9ELj4ELb0EL18RadixRankAlgorithm0E12hip_bfloat16EvPKT4_Pijj
		.amdhsa_group_segment_fixed_size 8432
		.amdhsa_private_segment_fixed_size 0
		.amdhsa_kernarg_size 24
		.amdhsa_user_sgpr_count 15
		.amdhsa_user_sgpr_dispatch_ptr 0
		.amdhsa_user_sgpr_queue_ptr 0
		.amdhsa_user_sgpr_kernarg_segment_ptr 1
		.amdhsa_user_sgpr_dispatch_id 0
		.amdhsa_user_sgpr_private_segment_size 0
		.amdhsa_wavefront_size32 1
		.amdhsa_uses_dynamic_stack 0
		.amdhsa_enable_private_segment 0
		.amdhsa_system_sgpr_workgroup_id_x 1
		.amdhsa_system_sgpr_workgroup_id_y 0
		.amdhsa_system_sgpr_workgroup_id_z 0
		.amdhsa_system_sgpr_workgroup_info 0
		.amdhsa_system_vgpr_workitem_id 0
		.amdhsa_next_free_vgpr 29
		.amdhsa_next_free_sgpr 16
		.amdhsa_reserve_vcc 1
		.amdhsa_float_round_mode_32 0
		.amdhsa_float_round_mode_16_64 0
		.amdhsa_float_denorm_mode_32 3
		.amdhsa_float_denorm_mode_16_64 3
		.amdhsa_dx10_clamp 1
		.amdhsa_ieee_mode 1
		.amdhsa_fp16_overflow 0
		.amdhsa_workgroup_processor_mode 1
		.amdhsa_memory_ordered 1
		.amdhsa_forward_progress 0
		.amdhsa_shared_vgpr_count 0
		.amdhsa_exception_fp_ieee_invalid_op 0
		.amdhsa_exception_fp_denorm_src 0
		.amdhsa_exception_fp_ieee_div_zero 0
		.amdhsa_exception_fp_ieee_overflow 0
		.amdhsa_exception_fp_ieee_underflow 0
		.amdhsa_exception_fp_ieee_inexact 0
		.amdhsa_exception_int_div_zero 0
	.end_amdhsa_kernel
	.section	.text._Z11rank_kernelILj234ELj9ELj4ELb0EL18RadixRankAlgorithm0E12hip_bfloat16EvPKT4_Pijj,"axG",@progbits,_Z11rank_kernelILj234ELj9ELj4ELb0EL18RadixRankAlgorithm0E12hip_bfloat16EvPKT4_Pijj,comdat
.Lfunc_end6:
	.size	_Z11rank_kernelILj234ELj9ELj4ELb0EL18RadixRankAlgorithm0E12hip_bfloat16EvPKT4_Pijj, .Lfunc_end6-_Z11rank_kernelILj234ELj9ELj4ELb0EL18RadixRankAlgorithm0E12hip_bfloat16EvPKT4_Pijj
                                        ; -- End function
	.section	.AMDGPU.csdata,"",@progbits
; Kernel info:
; codeLenInByte = 2420
; NumSgprs: 18
; NumVgprs: 29
; ScratchSize: 0
; MemoryBound: 0
; FloatMode: 240
; IeeeMode: 1
; LDSByteSize: 8432 bytes/workgroup (compile time only)
; SGPRBlocks: 2
; VGPRBlocks: 3
; NumSGPRsForWavesPerEU: 18
; NumVGPRsForWavesPerEU: 29
; Occupancy: 16
; WaveLimiterHint : 0
; COMPUTE_PGM_RSRC2:SCRATCH_EN: 0
; COMPUTE_PGM_RSRC2:USER_SGPR: 15
; COMPUTE_PGM_RSRC2:TRAP_HANDLER: 0
; COMPUTE_PGM_RSRC2:TGID_X_EN: 1
; COMPUTE_PGM_RSRC2:TGID_Y_EN: 0
; COMPUTE_PGM_RSRC2:TGID_Z_EN: 0
; COMPUTE_PGM_RSRC2:TIDIG_COMP_CNT: 0
	.section	.text._Z11rank_kernelILj234ELj9ELj4ELb0EL18RadixRankAlgorithm0E6__halfEvPKT4_Pijj,"axG",@progbits,_Z11rank_kernelILj234ELj9ELj4ELb0EL18RadixRankAlgorithm0E6__halfEvPKT4_Pijj,comdat
	.protected	_Z11rank_kernelILj234ELj9ELj4ELb0EL18RadixRankAlgorithm0E6__halfEvPKT4_Pijj ; -- Begin function _Z11rank_kernelILj234ELj9ELj4ELb0EL18RadixRankAlgorithm0E6__halfEvPKT4_Pijj
	.globl	_Z11rank_kernelILj234ELj9ELj4ELb0EL18RadixRankAlgorithm0E6__halfEvPKT4_Pijj
	.p2align	8
	.type	_Z11rank_kernelILj234ELj9ELj4ELb0EL18RadixRankAlgorithm0E6__halfEvPKT4_Pijj,@function
_Z11rank_kernelILj234ELj9ELj4ELb0EL18RadixRankAlgorithm0E6__halfEvPKT4_Pijj: ; @_Z11rank_kernelILj234ELj9ELj4ELb0EL18RadixRankAlgorithm0E6__halfEvPKT4_Pijj
; %bb.0:
	s_load_b128 s[4:7], s[0:1], 0x0
	v_mul_u32_u24_e32 v5, 9, v0
	s_mov_b32 s3, 0
	s_mul_i32 s2, s15, 0x83a
	v_add_nc_u32_e32 v8, 0xffffff16, v0
	s_lshl_b64 s[8:9], s[2:3], 1
	v_lshlrev_b32_e32 v6, 1, v5
	v_lshlrev_b32_e32 v7, 2, v0
	s_waitcnt lgkmcnt(0)
	s_add_u32 s4, s4, s8
	s_addc_u32 s5, s5, s9
	s_clause 0x1
	global_load_b128 v[1:4], v6, s[4:5]
	global_load_u16 v13, v6, s[4:5] offset:16
	v_mov_b32_e32 v6, 0
	s_mov_b32 s4, s3
.LBB7_1:                                ; =>This Inner Loop Header: Depth=1
	v_add_nc_u32_e32 v8, 0xea, v8
	ds_store_b32 v7, v6
	v_add_nc_u32_e32 v7, 0x3a8, v7
	v_cmp_lt_u32_e32 vcc_lo, 0x665, v8
	s_or_b32 s4, vcc_lo, s4
	s_delay_alu instid0(SALU_CYCLE_1)
	s_and_not1_b32 exec_lo, exec_lo, s4
	s_cbranch_execnz .LBB7_1
; %bb.2:
	s_or_b32 exec_lo, exec_lo, s4
	s_load_b64 s[0:1], s[0:1], 0x10
	s_waitcnt vmcnt(1)
	v_cmp_lt_i16_e32 vcc_lo, -1, v1
	v_cndmask_b32_e64 v6, -1, 0xffff8000, vcc_lo
	s_delay_alu instid0(VALU_DEP_1) | instskip(SKIP_1) | instid1(VALU_DEP_2)
	v_xor_b32_e32 v6, v6, v1
	v_lshrrev_b32_e32 v1, 16, v1
	v_cmp_ne_u16_e32 vcc_lo, 0x7fff, v6
	s_waitcnt lgkmcnt(0)
	s_and_b32 s1, s1, 31
	v_cndmask_b32_e32 v6, 0xffff8000, v6, vcc_lo
	s_cmp_eq_u32 s1, 0
	v_cmp_lt_i16_e32 vcc_lo, -1, v1
	s_cselect_b32 s4, -1, 0
	s_and_b32 s0, s0, 31
	v_and_b32_e32 v6, 0xffff, v6
	s_add_i32 s0, s0, s1
	v_cndmask_b32_e64 v7, -1, 0xffff8000, vcc_lo
	s_sub_i32 s0, 32, s0
	s_sub_i32 s1, 32, s1
	v_lshlrev_b32_e32 v6, s0, v6
	s_delay_alu instid0(VALU_DEP_2) | instskip(NEXT) | instid1(VALU_DEP_2)
	v_xor_b32_e32 v1, v7, v1
	v_bfe_u32 v6, v6, s1, 16
	s_delay_alu instid0(VALU_DEP_2) | instskip(NEXT) | instid1(VALU_DEP_2)
	v_cmp_ne_u16_e32 vcc_lo, 0x7fff, v1
	v_cndmask_b32_e64 v6, v6, 0, s4
	v_cndmask_b32_e32 v1, 0xffff8000, v1, vcc_lo
	v_cmp_lt_i16_e32 vcc_lo, -1, v2
	s_delay_alu instid0(VALU_DEP_3) | instskip(SKIP_1) | instid1(VALU_DEP_4)
	v_and_b32_e32 v7, 7, v6
	v_lshrrev_b32_e32 v6, 3, v6
	v_and_b32_e32 v1, 0xffff, v1
	v_cndmask_b32_e64 v8, -1, 0xffff8000, vcc_lo
	s_delay_alu instid0(VALU_DEP_4) | instskip(NEXT) | instid1(VALU_DEP_3)
	v_mul_u32_u24_e32 v7, 0xea, v7
	v_lshlrev_b32_e32 v1, s0, v1
	s_delay_alu instid0(VALU_DEP_2) | instskip(NEXT) | instid1(VALU_DEP_2)
	v_add_lshl_u32 v7, v7, v0, 1
	v_bfe_u32 v9, v1, s1, 16
	s_delay_alu instid0(VALU_DEP_2) | instskip(SKIP_1) | instid1(VALU_DEP_3)
	v_add_lshl_u32 v1, v7, v6, 1
	v_xor_b32_e32 v7, v8, v2
	v_cndmask_b32_e64 v8, v9, 0, s4
	v_lshrrev_b32_e32 v2, 16, v2
	ds_load_u16 v6, v1
	v_cmp_ne_u16_e32 vcc_lo, 0x7fff, v7
	v_and_b32_e32 v9, 7, v8
	v_lshrrev_b32_e32 v8, 3, v8
	v_cndmask_b32_e32 v7, 0xffff8000, v7, vcc_lo
	s_delay_alu instid0(VALU_DEP_3) | instskip(SKIP_1) | instid1(VALU_DEP_3)
	v_mul_u32_u24_e32 v9, 0xea, v9
	v_cmp_lt_i16_e32 vcc_lo, -1, v2
	v_and_b32_e32 v7, 0xffff, v7
	s_delay_alu instid0(VALU_DEP_3) | instskip(SKIP_1) | instid1(VALU_DEP_3)
	v_add_lshl_u32 v9, v9, v0, 1
	v_cndmask_b32_e64 v10, -1, 0xffff8000, vcc_lo
	v_lshlrev_b32_e32 v7, s0, v7
	s_waitcnt lgkmcnt(0)
	v_add_nc_u16 v12, v6, 1
	s_delay_alu instid0(VALU_DEP_2)
	v_bfe_u32 v11, v7, s1, 16
	v_add_lshl_u32 v7, v9, v8, 1
	v_xor_b32_e32 v8, v10, v2
	ds_store_b16 v1, v12
	v_cndmask_b32_e64 v9, v11, 0, s4
	ds_load_u16 v2, v7
	v_cmp_ne_u16_e32 vcc_lo, 0x7fff, v8
	v_and_b32_e32 v10, 7, v9
	v_lshrrev_b32_e32 v9, 3, v9
	v_cndmask_b32_e32 v8, 0xffff8000, v8, vcc_lo
	v_cmp_lt_i16_e32 vcc_lo, -1, v3
	s_delay_alu instid0(VALU_DEP_4) | instskip(NEXT) | instid1(VALU_DEP_3)
	v_mul_u32_u24_e32 v10, 0xea, v10
	v_and_b32_e32 v8, 0xffff, v8
	v_cndmask_b32_e64 v11, -1, 0xffff8000, vcc_lo
	s_delay_alu instid0(VALU_DEP_3) | instskip(NEXT) | instid1(VALU_DEP_3)
	v_add_lshl_u32 v10, v10, v0, 1
	v_lshlrev_b32_e32 v8, s0, v8
	s_delay_alu instid0(VALU_DEP_2) | instskip(SKIP_2) | instid1(VALU_DEP_3)
	v_add_lshl_u32 v9, v10, v9, 1
	s_waitcnt lgkmcnt(0)
	v_add_nc_u16 v10, v2, 1
	v_bfe_u32 v8, v8, s1, 16
	ds_store_b16 v7, v10
	v_xor_b32_e32 v10, v11, v3
	v_cndmask_b32_e64 v12, v8, 0, s4
	ds_load_u16 v8, v9
	v_lshrrev_b32_e32 v3, 16, v3
	v_cmp_ne_u16_e32 vcc_lo, 0x7fff, v10
	v_and_b32_e32 v11, 7, v12
	v_lshrrev_b32_e32 v12, 3, v12
	v_cndmask_b32_e32 v10, 0xffff8000, v10, vcc_lo
	s_delay_alu instid0(VALU_DEP_3) | instskip(SKIP_1) | instid1(VALU_DEP_3)
	v_mul_u32_u24_e32 v11, 0xea, v11
	v_cmp_lt_i16_e32 vcc_lo, -1, v3
	v_and_b32_e32 v10, 0xffff, v10
	s_delay_alu instid0(VALU_DEP_3) | instskip(SKIP_1) | instid1(VALU_DEP_3)
	v_add_lshl_u32 v11, v11, v0, 1
	v_cndmask_b32_e64 v15, -1, 0xffff8000, vcc_lo
	v_lshlrev_b32_e32 v14, s0, v10
	s_delay_alu instid0(VALU_DEP_3)
	v_add_lshl_u32 v10, v11, v12, 1
	s_waitcnt lgkmcnt(0)
	v_add_nc_u16 v16, v8, 1
	v_xor_b32_e32 v12, v15, v3
	v_bfe_u32 v11, v14, s1, 16
	ds_store_b16 v9, v16
	ds_load_u16 v3, v10
	v_cmp_ne_u16_e32 vcc_lo, 0x7fff, v12
	v_cndmask_b32_e64 v11, v11, 0, s4
	v_cndmask_b32_e32 v12, 0xffff8000, v12, vcc_lo
	s_delay_alu instid0(VALU_DEP_2) | instskip(SKIP_2) | instid1(VALU_DEP_4)
	v_and_b32_e32 v14, 7, v11
	v_cmp_lt_i16_e32 vcc_lo, -1, v4
	v_lshrrev_b32_e32 v11, 3, v11
	v_and_b32_e32 v12, 0xffff, v12
	s_delay_alu instid0(VALU_DEP_4) | instskip(SKIP_1) | instid1(VALU_DEP_3)
	v_mul_u32_u24_e32 v14, 0xea, v14
	v_cndmask_b32_e64 v15, -1, 0xffff8000, vcc_lo
	v_lshlrev_b32_e32 v12, s0, v12
	s_delay_alu instid0(VALU_DEP_3) | instskip(SKIP_2) | instid1(VALU_DEP_3)
	v_add_lshl_u32 v14, v14, v0, 1
	s_waitcnt lgkmcnt(0)
	v_add_nc_u16 v17, v3, 1
	v_bfe_u32 v16, v12, s1, 16
	s_delay_alu instid0(VALU_DEP_3)
	v_add_lshl_u32 v12, v14, v11, 1
	v_xor_b32_e32 v14, v15, v4
	v_lshrrev_b32_e32 v4, 16, v4
	ds_store_b16 v10, v17
	v_cndmask_b32_e64 v15, v16, 0, s4
	ds_load_u16 v11, v12
	v_cmp_ne_u16_e32 vcc_lo, 0x7fff, v14
	v_and_b32_e32 v16, 7, v15
	v_lshrrev_b32_e32 v15, 3, v15
	v_cndmask_b32_e32 v14, 0xffff8000, v14, vcc_lo
	v_cmp_lt_i16_e32 vcc_lo, -1, v4
	s_delay_alu instid0(VALU_DEP_4) | instskip(NEXT) | instid1(VALU_DEP_3)
	v_mul_u32_u24_e32 v16, 0xea, v16
	v_and_b32_e32 v14, 0xffff, v14
	v_cndmask_b32_e64 v17, -1, 0xffff8000, vcc_lo
	s_delay_alu instid0(VALU_DEP_3) | instskip(NEXT) | instid1(VALU_DEP_3)
	v_add_lshl_u32 v16, v16, v0, 1
	v_lshlrev_b32_e32 v14, s0, v14
	s_waitcnt lgkmcnt(0)
	v_add_nc_u16 v19, v11, 1
	s_delay_alu instid0(VALU_DEP_2)
	v_bfe_u32 v18, v14, s1, 16
	v_add_lshl_u32 v14, v16, v15, 1
	v_xor_b32_e32 v15, v17, v4
	ds_store_b16 v12, v19
	v_cndmask_b32_e64 v16, v18, 0, s4
	ds_load_u16 v4, v14
	v_cmp_ne_u16_e32 vcc_lo, 0x7fff, v15
	v_and_b32_e32 v17, 7, v16
	v_lshrrev_b32_e32 v16, 3, v16
	v_cndmask_b32_e32 v15, 0xffff8000, v15, vcc_lo
	s_waitcnt vmcnt(0)
	v_cmp_lt_i16_e32 vcc_lo, -1, v13
	v_mul_u32_u24_e32 v17, 0xea, v17
	s_delay_alu instid0(VALU_DEP_3) | instskip(SKIP_1) | instid1(VALU_DEP_3)
	v_and_b32_e32 v15, 0xffff, v15
	v_cndmask_b32_e64 v18, -1, 0xffff8000, vcc_lo
	v_add_lshl_u32 v17, v17, v0, 1
	s_delay_alu instid0(VALU_DEP_3) | instskip(NEXT) | instid1(VALU_DEP_3)
	v_lshlrev_b32_e32 v15, s0, v15
	v_xor_b32_e32 v13, v18, v13
	s_delay_alu instid0(VALU_DEP_3)
	v_add_lshl_u32 v16, v17, v16, 1
	s_waitcnt lgkmcnt(0)
	v_add_nc_u16 v17, v4, 1
	v_bfe_u32 v15, v15, s1, 16
	v_cmp_ne_u16_e32 vcc_lo, 0x7fff, v13
	ds_store_b16 v14, v17
	v_cndmask_b32_e64 v19, v15, 0, s4
	ds_load_u16 v15, v16
	v_cndmask_b32_e32 v13, 0xffff8000, v13, vcc_lo
	v_and_b32_e32 v17, 7, v19
	v_lshrrev_b32_e32 v18, 3, v19
	s_delay_alu instid0(VALU_DEP_3) | instskip(NEXT) | instid1(VALU_DEP_3)
	v_and_b32_e32 v13, 0xffff, v13
	v_mul_u32_u24_e32 v17, 0xea, v17
	s_delay_alu instid0(VALU_DEP_2) | instskip(SKIP_1) | instid1(VALU_DEP_2)
	v_lshlrev_b32_e32 v13, s0, v13
	s_mov_b32 s0, exec_lo
	v_add_lshl_u32 v17, v17, v0, 1
	s_delay_alu instid0(VALU_DEP_1)
	v_add_lshl_u32 v17, v17, v18, 1
	s_waitcnt lgkmcnt(0)
	v_add_nc_u16 v19, v15, 1
	v_bfe_u32 v18, v13, s1, 16
	ds_store_b16 v16, v19
	ds_load_u16 v13, v17
	v_cndmask_b32_e64 v18, v18, 0, s4
	s_delay_alu instid0(VALU_DEP_1) | instskip(SKIP_1) | instid1(VALU_DEP_2)
	v_and_b32_e32 v19, 7, v18
	v_lshrrev_b32_e32 v18, 3, v18
	v_mul_u32_u24_e32 v19, 0xea, v19
	s_delay_alu instid0(VALU_DEP_1) | instskip(SKIP_2) | instid1(VALU_DEP_2)
	v_add_lshl_u32 v19, v19, v0, 1
	s_waitcnt lgkmcnt(0)
	v_add_nc_u16 v20, v13, 1
	v_add_lshl_u32 v19, v19, v18, 1
	ds_store_b16 v17, v20
	v_lshlrev_b32_e32 v20, 5, v0
	ds_load_u16 v18, v19
	s_waitcnt lgkmcnt(0)
	v_add_nc_u16 v21, v18, 1
	ds_store_b16 v19, v21
	s_waitcnt lgkmcnt(0)
	s_barrier
	buffer_gl0_inv
	ds_load_2addr_b32 v[21:22], v20 offset1:1
	ds_load_2addr_b32 v[23:24], v20 offset0:2 offset1:3
	ds_load_2addr_b32 v[25:26], v20 offset0:4 offset1:5
	;; [unrolled: 1-line block ×3, first 2 shown]
	s_waitcnt lgkmcnt(3)
	v_add_nc_u32_e32 v21, v22, v21
	s_waitcnt lgkmcnt(2)
	s_delay_alu instid0(VALU_DEP_1) | instskip(SKIP_1) | instid1(VALU_DEP_1)
	v_add3_u32 v21, v21, v23, v24
	s_waitcnt lgkmcnt(1)
	v_add3_u32 v22, v21, v25, v26
	v_mbcnt_lo_u32_b32 v21, -1, 0
	s_waitcnt lgkmcnt(0)
	s_delay_alu instid0(VALU_DEP_2) | instskip(NEXT) | instid1(VALU_DEP_2)
	v_add3_u32 v22, v22, v27, v28
	v_and_b32_e32 v23, 15, v21
	v_bfe_i32 v25, v21, 4, 1
	s_delay_alu instid0(VALU_DEP_3) | instskip(NEXT) | instid1(VALU_DEP_3)
	v_mov_b32_dpp v24, v22 row_shr:1 row_mask:0xf bank_mask:0xf
	v_cmp_ne_u32_e32 vcc_lo, 0, v23
	s_delay_alu instid0(VALU_DEP_2) | instskip(SKIP_1) | instid1(VALU_DEP_2)
	v_cndmask_b32_e32 v24, 0, v24, vcc_lo
	v_cmp_lt_u32_e32 vcc_lo, 1, v23
	v_add_nc_u32_e32 v22, v24, v22
	s_delay_alu instid0(VALU_DEP_1) | instskip(NEXT) | instid1(VALU_DEP_1)
	v_mov_b32_dpp v24, v22 row_shr:2 row_mask:0xf bank_mask:0xf
	v_cndmask_b32_e32 v24, 0, v24, vcc_lo
	v_cmp_lt_u32_e32 vcc_lo, 3, v23
	s_delay_alu instid0(VALU_DEP_2) | instskip(NEXT) | instid1(VALU_DEP_1)
	v_add_nc_u32_e32 v22, v22, v24
	v_mov_b32_dpp v24, v22 row_shr:4 row_mask:0xf bank_mask:0xf
	s_delay_alu instid0(VALU_DEP_1) | instskip(SKIP_1) | instid1(VALU_DEP_2)
	v_cndmask_b32_e32 v24, 0, v24, vcc_lo
	v_cmp_lt_u32_e32 vcc_lo, 7, v23
	v_add_nc_u32_e32 v22, v22, v24
	s_delay_alu instid0(VALU_DEP_1) | instskip(NEXT) | instid1(VALU_DEP_1)
	v_mov_b32_dpp v24, v22 row_shr:8 row_mask:0xf bank_mask:0xf
	v_cndmask_b32_e32 v23, 0, v24, vcc_lo
	v_and_b32_e32 v24, 0xe0, v0
	s_delay_alu instid0(VALU_DEP_2) | instskip(NEXT) | instid1(VALU_DEP_2)
	v_add_nc_u32_e32 v22, v22, v23
	v_min_u32_e32 v24, 0xca, v24
	ds_swizzle_b32 v23, v22 offset:swizzle(BROADCAST,32,15)
	v_add_nc_u32_e32 v24, 31, v24
	s_waitcnt lgkmcnt(0)
	v_and_b32_e32 v23, v25, v23
	v_lshrrev_b32_e32 v25, 5, v0
	s_delay_alu instid0(VALU_DEP_2) | instskip(NEXT) | instid1(VALU_DEP_2)
	v_add_nc_u32_e32 v22, v22, v23
	v_lshlrev_b32_e32 v23, 2, v25
	v_cmpx_eq_u32_e64 v24, v0
	s_cbranch_execz .LBB7_4
; %bb.3:
	ds_store_b32 v23, v22 offset:7488
.LBB7_4:
	s_or_b32 exec_lo, exec_lo, s0
	s_delay_alu instid0(SALU_CYCLE_1)
	s_mov_b32 s0, exec_lo
	s_waitcnt lgkmcnt(0)
	s_barrier
	buffer_gl0_inv
	v_cmpx_gt_u32_e32 8, v0
	s_cbranch_execz .LBB7_6
; %bb.5:
	v_and_b32_e32 v26, 7, v21
	s_delay_alu instid0(VALU_DEP_1) | instskip(SKIP_4) | instid1(VALU_DEP_1)
	v_cmp_ne_u32_e32 vcc_lo, 0, v26
	v_lshlrev_b32_e32 v24, 2, v0
	ds_load_b32 v25, v24 offset:7488
	s_waitcnt lgkmcnt(0)
	v_mov_b32_dpp v27, v25 row_shr:1 row_mask:0xf bank_mask:0xf
	v_cndmask_b32_e32 v27, 0, v27, vcc_lo
	v_cmp_lt_u32_e32 vcc_lo, 1, v26
	s_delay_alu instid0(VALU_DEP_2) | instskip(NEXT) | instid1(VALU_DEP_1)
	v_add_nc_u32_e32 v25, v27, v25
	v_mov_b32_dpp v27, v25 row_shr:2 row_mask:0xf bank_mask:0xf
	s_delay_alu instid0(VALU_DEP_1) | instskip(SKIP_1) | instid1(VALU_DEP_2)
	v_cndmask_b32_e32 v27, 0, v27, vcc_lo
	v_cmp_lt_u32_e32 vcc_lo, 3, v26
	v_add_nc_u32_e32 v25, v25, v27
	s_delay_alu instid0(VALU_DEP_1) | instskip(NEXT) | instid1(VALU_DEP_1)
	v_mov_b32_dpp v27, v25 row_shr:4 row_mask:0xf bank_mask:0xf
	v_cndmask_b32_e32 v26, 0, v27, vcc_lo
	s_delay_alu instid0(VALU_DEP_1)
	v_add_nc_u32_e32 v25, v25, v26
	ds_store_b32 v24, v25 offset:7488
.LBB7_6:
	s_or_b32 exec_lo, exec_lo, s0
	v_cmp_lt_u32_e32 vcc_lo, 31, v0
	v_mov_b32_e32 v24, 0
	v_mov_b32_e32 v0, 0
	s_waitcnt lgkmcnt(0)
	s_barrier
	buffer_gl0_inv
	s_and_saveexec_b32 s0, vcc_lo
	s_cbranch_execz .LBB7_8
; %bb.7:
	ds_load_b32 v0, v23 offset:7484
.LBB7_8:
	s_or_b32 exec_lo, exec_lo, s0
	v_add_nc_u32_e32 v23, -1, v21
	v_and_b32_e32 v6, 0xffff, v6
	v_and_b32_e32 v2, 0xffff, v2
	;; [unrolled: 1-line block ×4, first 2 shown]
	v_cmp_gt_i32_e32 vcc_lo, 0, v23
	v_and_b32_e32 v11, 0xffff, v11
	v_and_b32_e32 v15, 0xffff, v15
	;; [unrolled: 1-line block ×3, first 2 shown]
	v_dual_cndmask_b32 v23, v23, v21 :: v_dual_and_b32 v18, 0xffff, v18
	s_waitcnt lgkmcnt(0)
	v_add_nc_u32_e32 v22, v0, v22
	v_cmp_eq_u32_e32 vcc_lo, 0, v21
	s_lshl_b64 s[0:1], s[2:3], 2
	s_delay_alu instid0(SALU_CYCLE_1)
	s_add_u32 s0, s6, s0
	v_lshlrev_b32_e32 v23, 2, v23
	s_addc_u32 s1, s7, s1
	ds_bpermute_b32 v25, v23, v22
	ds_load_b32 v26, v24 offset:7516
	ds_load_2addr_b32 v[22:23], v20 offset1:1
	s_waitcnt lgkmcnt(2)
	v_cndmask_b32_e32 v0, v25, v0, vcc_lo
	ds_load_2addr_b32 v[24:25], v20 offset0:2 offset1:3
	s_waitcnt lgkmcnt(2)
	v_lshl_add_u32 v0, v26, 16, v0
	ds_load_2addr_b32 v[26:27], v20 offset0:4 offset1:5
	ds_load_b32 v21, v20 offset:24
	s_waitcnt lgkmcnt(3)
	v_add_nc_u32_e32 v22, v0, v22
	s_delay_alu instid0(VALU_DEP_1) | instskip(SKIP_1) | instid1(VALU_DEP_1)
	v_add_nc_u32_e32 v23, v23, v22
	s_waitcnt lgkmcnt(2)
	v_add_nc_u32_e32 v24, v24, v23
	s_delay_alu instid0(VALU_DEP_1) | instskip(SKIP_1) | instid1(VALU_DEP_1)
	v_add_nc_u32_e32 v25, v25, v24
	;; [unrolled: 4-line block ×3, first 2 shown]
	s_waitcnt lgkmcnt(0)
	v_add_nc_u32_e32 v21, v21, v27
	ds_store_2addr_b32 v20, v0, v22 offset1:1
	ds_store_2addr_b32 v20, v23, v24 offset0:2 offset1:3
	ds_store_2addr_b32 v20, v25, v26 offset0:4 offset1:5
	;; [unrolled: 1-line block ×3, first 2 shown]
	s_waitcnt lgkmcnt(0)
	s_barrier
	buffer_gl0_inv
	ds_load_u16 v0, v1
	ds_load_u16 v1, v7
	;; [unrolled: 1-line block ×9, first 2 shown]
	v_and_b32_e32 v19, 0xffff, v4
	v_lshlrev_b32_e32 v20, 2, v5
	s_waitcnt lgkmcnt(8)
	v_add_nc_u32_e32 v0, v0, v6
	s_waitcnt lgkmcnt(7)
	v_add_nc_u32_e32 v1, v1, v2
	;; [unrolled: 2-line block ×9, first 2 shown]
	s_clause 0x2
	global_store_b128 v20, v[0:3], s[0:1]
	global_store_b128 v20, v[4:7], s[0:1] offset:16
	global_store_b32 v20, v8, s[0:1] offset:32
	s_nop 0
	s_sendmsg sendmsg(MSG_DEALLOC_VGPRS)
	s_endpgm
	.section	.rodata,"a",@progbits
	.p2align	6, 0x0
	.amdhsa_kernel _Z11rank_kernelILj234ELj9ELj4ELb0EL18RadixRankAlgorithm0E6__halfEvPKT4_Pijj
		.amdhsa_group_segment_fixed_size 8432
		.amdhsa_private_segment_fixed_size 0
		.amdhsa_kernarg_size 24
		.amdhsa_user_sgpr_count 15
		.amdhsa_user_sgpr_dispatch_ptr 0
		.amdhsa_user_sgpr_queue_ptr 0
		.amdhsa_user_sgpr_kernarg_segment_ptr 1
		.amdhsa_user_sgpr_dispatch_id 0
		.amdhsa_user_sgpr_private_segment_size 0
		.amdhsa_wavefront_size32 1
		.amdhsa_uses_dynamic_stack 0
		.amdhsa_enable_private_segment 0
		.amdhsa_system_sgpr_workgroup_id_x 1
		.amdhsa_system_sgpr_workgroup_id_y 0
		.amdhsa_system_sgpr_workgroup_id_z 0
		.amdhsa_system_sgpr_workgroup_info 0
		.amdhsa_system_vgpr_workitem_id 0
		.amdhsa_next_free_vgpr 29
		.amdhsa_next_free_sgpr 16
		.amdhsa_reserve_vcc 1
		.amdhsa_float_round_mode_32 0
		.amdhsa_float_round_mode_16_64 0
		.amdhsa_float_denorm_mode_32 3
		.amdhsa_float_denorm_mode_16_64 3
		.amdhsa_dx10_clamp 1
		.amdhsa_ieee_mode 1
		.amdhsa_fp16_overflow 0
		.amdhsa_workgroup_processor_mode 1
		.amdhsa_memory_ordered 1
		.amdhsa_forward_progress 0
		.amdhsa_shared_vgpr_count 0
		.amdhsa_exception_fp_ieee_invalid_op 0
		.amdhsa_exception_fp_denorm_src 0
		.amdhsa_exception_fp_ieee_div_zero 0
		.amdhsa_exception_fp_ieee_overflow 0
		.amdhsa_exception_fp_ieee_underflow 0
		.amdhsa_exception_fp_ieee_inexact 0
		.amdhsa_exception_int_div_zero 0
	.end_amdhsa_kernel
	.section	.text._Z11rank_kernelILj234ELj9ELj4ELb0EL18RadixRankAlgorithm0E6__halfEvPKT4_Pijj,"axG",@progbits,_Z11rank_kernelILj234ELj9ELj4ELb0EL18RadixRankAlgorithm0E6__halfEvPKT4_Pijj,comdat
.Lfunc_end7:
	.size	_Z11rank_kernelILj234ELj9ELj4ELb0EL18RadixRankAlgorithm0E6__halfEvPKT4_Pijj, .Lfunc_end7-_Z11rank_kernelILj234ELj9ELj4ELb0EL18RadixRankAlgorithm0E6__halfEvPKT4_Pijj
                                        ; -- End function
	.section	.AMDGPU.csdata,"",@progbits
; Kernel info:
; codeLenInByte = 2420
; NumSgprs: 18
; NumVgprs: 29
; ScratchSize: 0
; MemoryBound: 0
; FloatMode: 240
; IeeeMode: 1
; LDSByteSize: 8432 bytes/workgroup (compile time only)
; SGPRBlocks: 2
; VGPRBlocks: 3
; NumSGPRsForWavesPerEU: 18
; NumVGPRsForWavesPerEU: 29
; Occupancy: 16
; WaveLimiterHint : 0
; COMPUTE_PGM_RSRC2:SCRATCH_EN: 0
; COMPUTE_PGM_RSRC2:USER_SGPR: 15
; COMPUTE_PGM_RSRC2:TRAP_HANDLER: 0
; COMPUTE_PGM_RSRC2:TGID_X_EN: 1
; COMPUTE_PGM_RSRC2:TGID_Y_EN: 0
; COMPUTE_PGM_RSRC2:TGID_Z_EN: 0
; COMPUTE_PGM_RSRC2:TIDIG_COMP_CNT: 0
	.section	.text._Z11rank_kernelILj100ELj3ELj4ELb0EL18RadixRankAlgorithm0EtEvPKT4_Pijj,"axG",@progbits,_Z11rank_kernelILj100ELj3ELj4ELb0EL18RadixRankAlgorithm0EtEvPKT4_Pijj,comdat
	.protected	_Z11rank_kernelILj100ELj3ELj4ELb0EL18RadixRankAlgorithm0EtEvPKT4_Pijj ; -- Begin function _Z11rank_kernelILj100ELj3ELj4ELb0EL18RadixRankAlgorithm0EtEvPKT4_Pijj
	.globl	_Z11rank_kernelILj100ELj3ELj4ELb0EL18RadixRankAlgorithm0EtEvPKT4_Pijj
	.p2align	8
	.type	_Z11rank_kernelILj100ELj3ELj4ELb0EL18RadixRankAlgorithm0EtEvPKT4_Pijj,@function
_Z11rank_kernelILj100ELj3ELj4ELb0EL18RadixRankAlgorithm0EtEvPKT4_Pijj: ; @_Z11rank_kernelILj100ELj3ELj4ELb0EL18RadixRankAlgorithm0EtEvPKT4_Pijj
; %bb.0:
	s_load_b128 s[4:7], s[0:1], 0x0
	v_mul_u32_u24_e32 v1, 3, v0
	s_mov_b32 s3, 0
	s_mul_i32 s2, s15, 0x12c
	v_lshlrev_b32_e32 v4, 2, v0
	s_lshl_b64 s[8:9], s[2:3], 1
	v_lshlrev_b32_e32 v2, 1, v1
	s_waitcnt lgkmcnt(0)
	s_add_u32 s4, s4, s8
	s_addc_u32 s5, s5, s9
	s_clause 0x1
	global_load_d16_b16 v5, v2, s[4:5] offset:4
	global_load_b32 v2, v2, s[4:5]
	s_mov_b32 s4, exec_lo
	v_cmpx_gt_u32_e32 0x320, v0
	s_cbranch_execz .LBB8_3
; %bb.1:
	v_dual_mov_b32 v6, 0 :: v_dual_add_nc_u32 v3, 0xffffff9c, v0
	v_mov_b32_e32 v7, v4
	s_mov_b32 s5, s3
.LBB8_2:                                ; =>This Inner Loop Header: Depth=1
	s_delay_alu instid0(VALU_DEP_2) | instskip(SKIP_4) | instid1(SALU_CYCLE_1)
	v_add_nc_u32_e32 v3, 0x64, v3
	ds_store_b32 v7, v6
	v_add_nc_u32_e32 v7, 0x190, v7
	v_cmp_lt_u32_e32 vcc_lo, 0x2bb, v3
	s_or_b32 s5, vcc_lo, s5
	s_and_not1_b32 exec_lo, exec_lo, s5
	s_cbranch_execnz .LBB8_2
.LBB8_3:
	s_or_b32 exec_lo, exec_lo, s4
	s_load_b64 s[0:1], s[0:1], 0x10
	s_waitcnt vmcnt(0)
	v_and_b32_e32 v3, 0xffff, v2
	v_lshrrev_b32_e32 v2, 16, v2
	v_and_b32_e32 v5, 0xffff, v5
	s_waitcnt lgkmcnt(0)
	s_and_b32 s1, s1, 31
	s_delay_alu instid0(SALU_CYCLE_1) | instskip(SKIP_2) | instid1(SALU_CYCLE_1)
	s_cmp_eq_u32 s1, 0
	s_cselect_b32 s4, -1, 0
	s_and_b32 s0, s0, 31
	s_add_i32 s0, s0, s1
	s_sub_i32 s1, 32, s1
	s_sub_i32 s0, 32, s0
	s_delay_alu instid0(SALU_CYCLE_1) | instskip(SKIP_3) | instid1(VALU_DEP_3)
	v_lshlrev_b32_e32 v3, s0, v3
	v_lshlrev_b32_e32 v2, s0, v2
	;; [unrolled: 1-line block ×3, first 2 shown]
	s_mov_b32 s0, exec_lo
	v_bfe_u32 v3, v3, s1, 16
	s_delay_alu instid0(VALU_DEP_1) | instskip(NEXT) | instid1(VALU_DEP_1)
	v_cndmask_b32_e64 v3, v3, 0, s4
	v_and_b32_e32 v6, 7, v3
	v_lshrrev_b32_e32 v3, 3, v3
	s_delay_alu instid0(VALU_DEP_2) | instskip(NEXT) | instid1(VALU_DEP_1)
	v_mul_u32_u24_e32 v6, 0x64, v6
	v_add_lshl_u32 v6, v6, v0, 1
	s_delay_alu instid0(VALU_DEP_1) | instskip(SKIP_3) | instid1(VALU_DEP_1)
	v_add_lshl_u32 v3, v6, v3, 1
	v_bfe_u32 v6, v2, s1, 16
	ds_load_u16 v2, v3
	v_cndmask_b32_e64 v6, v6, 0, s4
	v_and_b32_e32 v7, 7, v6
	v_lshrrev_b32_e32 v6, 3, v6
	s_delay_alu instid0(VALU_DEP_2) | instskip(NEXT) | instid1(VALU_DEP_1)
	v_mul_u32_u24_e32 v7, 0x64, v7
	v_add_lshl_u32 v7, v7, v0, 1
	s_waitcnt lgkmcnt(0)
	v_add_nc_u16 v8, v2, 1
	s_delay_alu instid0(VALU_DEP_2) | instskip(SKIP_4) | instid1(VALU_DEP_1)
	v_add_lshl_u32 v6, v7, v6, 1
	v_bfe_u32 v7, v5, s1, 16
	ds_store_b16 v3, v8
	ds_load_u16 v5, v6
	v_cndmask_b32_e64 v7, v7, 0, s4
	v_and_b32_e32 v8, 7, v7
	v_lshrrev_b32_e32 v7, 3, v7
	s_delay_alu instid0(VALU_DEP_2) | instskip(NEXT) | instid1(VALU_DEP_1)
	v_mul_u32_u24_e32 v8, 0x64, v8
	v_add_lshl_u32 v8, v8, v0, 1
	s_waitcnt lgkmcnt(0)
	v_add_nc_u16 v9, v5, 1
	s_delay_alu instid0(VALU_DEP_2)
	v_add_lshl_u32 v8, v8, v7, 1
	ds_store_b16 v6, v9
	ds_load_u16 v7, v8
	v_lshlrev_b32_e32 v9, 5, v0
	s_waitcnt lgkmcnt(0)
	v_add_nc_u16 v10, v7, 1
	ds_store_b16 v8, v10
	s_waitcnt lgkmcnt(0)
	s_barrier
	buffer_gl0_inv
	ds_load_2addr_b32 v[10:11], v9 offset1:1
	ds_load_2addr_b32 v[12:13], v9 offset0:2 offset1:3
	ds_load_2addr_b32 v[14:15], v9 offset0:4 offset1:5
	;; [unrolled: 1-line block ×3, first 2 shown]
	s_waitcnt lgkmcnt(3)
	v_add_nc_u32_e32 v10, v11, v10
	s_waitcnt lgkmcnt(2)
	s_delay_alu instid0(VALU_DEP_1) | instskip(SKIP_1) | instid1(VALU_DEP_1)
	v_add3_u32 v10, v10, v12, v13
	s_waitcnt lgkmcnt(1)
	v_add3_u32 v11, v10, v14, v15
	v_mbcnt_lo_u32_b32 v10, -1, 0
	s_waitcnt lgkmcnt(0)
	s_delay_alu instid0(VALU_DEP_2) | instskip(NEXT) | instid1(VALU_DEP_2)
	v_add3_u32 v11, v11, v16, v17
	v_and_b32_e32 v12, 15, v10
	v_bfe_i32 v14, v10, 4, 1
	s_delay_alu instid0(VALU_DEP_3) | instskip(NEXT) | instid1(VALU_DEP_3)
	v_mov_b32_dpp v13, v11 row_shr:1 row_mask:0xf bank_mask:0xf
	v_cmp_ne_u32_e32 vcc_lo, 0, v12
	s_delay_alu instid0(VALU_DEP_2) | instskip(SKIP_1) | instid1(VALU_DEP_2)
	v_cndmask_b32_e32 v13, 0, v13, vcc_lo
	v_cmp_lt_u32_e32 vcc_lo, 1, v12
	v_add_nc_u32_e32 v11, v13, v11
	s_delay_alu instid0(VALU_DEP_1) | instskip(NEXT) | instid1(VALU_DEP_1)
	v_mov_b32_dpp v13, v11 row_shr:2 row_mask:0xf bank_mask:0xf
	v_cndmask_b32_e32 v13, 0, v13, vcc_lo
	v_cmp_lt_u32_e32 vcc_lo, 3, v12
	s_delay_alu instid0(VALU_DEP_2) | instskip(NEXT) | instid1(VALU_DEP_1)
	v_add_nc_u32_e32 v11, v11, v13
	v_mov_b32_dpp v13, v11 row_shr:4 row_mask:0xf bank_mask:0xf
	s_delay_alu instid0(VALU_DEP_1) | instskip(SKIP_1) | instid1(VALU_DEP_2)
	v_cndmask_b32_e32 v13, 0, v13, vcc_lo
	v_cmp_lt_u32_e32 vcc_lo, 7, v12
	v_add_nc_u32_e32 v11, v11, v13
	s_delay_alu instid0(VALU_DEP_1) | instskip(NEXT) | instid1(VALU_DEP_1)
	v_mov_b32_dpp v13, v11 row_shr:8 row_mask:0xf bank_mask:0xf
	v_dual_cndmask_b32 v12, 0, v13 :: v_dual_and_b32 v13, 0x60, v0
	s_delay_alu instid0(VALU_DEP_1) | instskip(NEXT) | instid1(VALU_DEP_2)
	v_add_nc_u32_e32 v11, v11, v12
	v_min_u32_e32 v13, 0x44, v13
	ds_swizzle_b32 v12, v11 offset:swizzle(BROADCAST,32,15)
	v_add_nc_u32_e32 v13, 31, v13
	s_waitcnt lgkmcnt(0)
	v_and_b32_e32 v12, v14, v12
	v_lshrrev_b32_e32 v14, 5, v0
	s_delay_alu instid0(VALU_DEP_2) | instskip(NEXT) | instid1(VALU_DEP_2)
	v_add_nc_u32_e32 v11, v11, v12
	v_lshlrev_b32_e32 v12, 2, v14
	v_cmpx_eq_u32_e64 v13, v0
	s_cbranch_execz .LBB8_5
; %bb.4:
	ds_store_b32 v12, v11 offset:3200
.LBB8_5:
	s_or_b32 exec_lo, exec_lo, s0
	s_delay_alu instid0(SALU_CYCLE_1)
	s_mov_b32 s0, exec_lo
	s_waitcnt lgkmcnt(0)
	s_barrier
	buffer_gl0_inv
	v_cmpx_gt_u32_e32 4, v0
	s_cbranch_execz .LBB8_7
; %bb.6:
	ds_load_b32 v13, v4 offset:3200
	s_waitcnt lgkmcnt(0)
	v_mov_b32_dpp v15, v13 row_shr:1 row_mask:0xf bank_mask:0xf
	v_and_b32_e32 v14, 3, v10
	s_delay_alu instid0(VALU_DEP_1) | instskip(NEXT) | instid1(VALU_DEP_3)
	v_cmp_ne_u32_e32 vcc_lo, 0, v14
	v_cndmask_b32_e32 v15, 0, v15, vcc_lo
	v_cmp_lt_u32_e32 vcc_lo, 1, v14
	s_delay_alu instid0(VALU_DEP_2) | instskip(NEXT) | instid1(VALU_DEP_1)
	v_add_nc_u32_e32 v13, v15, v13
	v_mov_b32_dpp v15, v13 row_shr:2 row_mask:0xf bank_mask:0xf
	s_delay_alu instid0(VALU_DEP_1) | instskip(NEXT) | instid1(VALU_DEP_1)
	v_cndmask_b32_e32 v14, 0, v15, vcc_lo
	v_add_nc_u32_e32 v13, v13, v14
	ds_store_b32 v4, v13 offset:3200
.LBB8_7:
	s_or_b32 exec_lo, exec_lo, s0
	v_cmp_lt_u32_e32 vcc_lo, 31, v0
	v_mov_b32_e32 v4, 0
	v_mov_b32_e32 v0, 0
	s_waitcnt lgkmcnt(0)
	s_barrier
	buffer_gl0_inv
	s_and_saveexec_b32 s0, vcc_lo
	s_cbranch_execz .LBB8_9
; %bb.8:
	ds_load_b32 v0, v12 offset:3196
.LBB8_9:
	s_or_b32 exec_lo, exec_lo, s0
	v_add_nc_u32_e32 v12, -1, v10
	v_and_b32_e32 v2, 0xffff, v2
	s_lshl_b64 s[0:1], s[2:3], 2
	v_and_b32_e32 v5, 0xffff, v5
	s_add_u32 s0, s6, s0
	v_cmp_gt_i32_e32 vcc_lo, 0, v12
	s_addc_u32 s1, s7, s1
	v_cndmask_b32_e32 v12, v12, v10, vcc_lo
	v_cmp_eq_u32_e32 vcc_lo, 0, v10
	s_waitcnt lgkmcnt(0)
	v_add_nc_u32_e32 v11, v0, v11
	s_delay_alu instid0(VALU_DEP_3)
	v_lshlrev_b32_e32 v12, 2, v12
	ds_bpermute_b32 v13, v12, v11
	ds_load_b32 v4, v4 offset:3212
	ds_load_2addr_b32 v[11:12], v9 offset1:1
	s_waitcnt lgkmcnt(2)
	v_cndmask_b32_e32 v0, v13, v0, vcc_lo
	ds_load_2addr_b32 v[13:14], v9 offset0:2 offset1:3
	s_waitcnt lgkmcnt(2)
	v_lshl_add_u32 v0, v4, 16, v0
	ds_load_2addr_b32 v[15:16], v9 offset0:4 offset1:5
	ds_load_b32 v4, v9 offset:24
	s_waitcnt lgkmcnt(3)
	v_add_nc_u32_e32 v10, v0, v11
	s_delay_alu instid0(VALU_DEP_1) | instskip(SKIP_1) | instid1(VALU_DEP_1)
	v_add_nc_u32_e32 v11, v12, v10
	s_waitcnt lgkmcnt(2)
	v_add_nc_u32_e32 v12, v13, v11
	s_delay_alu instid0(VALU_DEP_1) | instskip(SKIP_1) | instid1(VALU_DEP_1)
	v_add_nc_u32_e32 v13, v14, v12
	;; [unrolled: 4-line block ×3, first 2 shown]
	s_waitcnt lgkmcnt(0)
	v_add_nc_u32_e32 v4, v4, v15
	ds_store_2addr_b32 v9, v0, v10 offset1:1
	ds_store_2addr_b32 v9, v11, v12 offset0:2 offset1:3
	ds_store_2addr_b32 v9, v13, v14 offset0:4 offset1:5
	;; [unrolled: 1-line block ×3, first 2 shown]
	s_waitcnt lgkmcnt(0)
	s_barrier
	buffer_gl0_inv
	ds_load_u16 v0, v3
	ds_load_u16 v3, v6
	;; [unrolled: 1-line block ×3, first 2 shown]
	v_and_b32_e32 v6, 0xffff, v7
	s_waitcnt lgkmcnt(2)
	v_add_nc_u32_e32 v2, v0, v2
	s_waitcnt lgkmcnt(1)
	v_add_nc_u32_e32 v3, v3, v5
	;; [unrolled: 2-line block ×3, first 2 shown]
	v_lshlrev_b32_e32 v0, 2, v1
	global_store_b96 v0, v[2:4], s[0:1]
	s_nop 0
	s_sendmsg sendmsg(MSG_DEALLOC_VGPRS)
	s_endpgm
	.section	.rodata,"a",@progbits
	.p2align	6, 0x0
	.amdhsa_kernel _Z11rank_kernelILj100ELj3ELj4ELb0EL18RadixRankAlgorithm0EtEvPKT4_Pijj
		.amdhsa_group_segment_fixed_size 3216
		.amdhsa_private_segment_fixed_size 0
		.amdhsa_kernarg_size 24
		.amdhsa_user_sgpr_count 15
		.amdhsa_user_sgpr_dispatch_ptr 0
		.amdhsa_user_sgpr_queue_ptr 0
		.amdhsa_user_sgpr_kernarg_segment_ptr 1
		.amdhsa_user_sgpr_dispatch_id 0
		.amdhsa_user_sgpr_private_segment_size 0
		.amdhsa_wavefront_size32 1
		.amdhsa_uses_dynamic_stack 0
		.amdhsa_enable_private_segment 0
		.amdhsa_system_sgpr_workgroup_id_x 1
		.amdhsa_system_sgpr_workgroup_id_y 0
		.amdhsa_system_sgpr_workgroup_id_z 0
		.amdhsa_system_sgpr_workgroup_info 0
		.amdhsa_system_vgpr_workitem_id 0
		.amdhsa_next_free_vgpr 18
		.amdhsa_next_free_sgpr 16
		.amdhsa_reserve_vcc 1
		.amdhsa_float_round_mode_32 0
		.amdhsa_float_round_mode_16_64 0
		.amdhsa_float_denorm_mode_32 3
		.amdhsa_float_denorm_mode_16_64 3
		.amdhsa_dx10_clamp 1
		.amdhsa_ieee_mode 1
		.amdhsa_fp16_overflow 0
		.amdhsa_workgroup_processor_mode 1
		.amdhsa_memory_ordered 1
		.amdhsa_forward_progress 0
		.amdhsa_shared_vgpr_count 0
		.amdhsa_exception_fp_ieee_invalid_op 0
		.amdhsa_exception_fp_denorm_src 0
		.amdhsa_exception_fp_ieee_div_zero 0
		.amdhsa_exception_fp_ieee_overflow 0
		.amdhsa_exception_fp_ieee_underflow 0
		.amdhsa_exception_fp_ieee_inexact 0
		.amdhsa_exception_int_div_zero 0
	.end_amdhsa_kernel
	.section	.text._Z11rank_kernelILj100ELj3ELj4ELb0EL18RadixRankAlgorithm0EtEvPKT4_Pijj,"axG",@progbits,_Z11rank_kernelILj100ELj3ELj4ELb0EL18RadixRankAlgorithm0EtEvPKT4_Pijj,comdat
.Lfunc_end8:
	.size	_Z11rank_kernelILj100ELj3ELj4ELb0EL18RadixRankAlgorithm0EtEvPKT4_Pijj, .Lfunc_end8-_Z11rank_kernelILj100ELj3ELj4ELb0EL18RadixRankAlgorithm0EtEvPKT4_Pijj
                                        ; -- End function
	.section	.AMDGPU.csdata,"",@progbits
; Kernel info:
; codeLenInByte = 1280
; NumSgprs: 18
; NumVgprs: 18
; ScratchSize: 0
; MemoryBound: 0
; FloatMode: 240
; IeeeMode: 1
; LDSByteSize: 3216 bytes/workgroup (compile time only)
; SGPRBlocks: 2
; VGPRBlocks: 2
; NumSGPRsForWavesPerEU: 18
; NumVGPRsForWavesPerEU: 18
; Occupancy: 16
; WaveLimiterHint : 0
; COMPUTE_PGM_RSRC2:SCRATCH_EN: 0
; COMPUTE_PGM_RSRC2:USER_SGPR: 15
; COMPUTE_PGM_RSRC2:TRAP_HANDLER: 0
; COMPUTE_PGM_RSRC2:TGID_X_EN: 1
; COMPUTE_PGM_RSRC2:TGID_Y_EN: 0
; COMPUTE_PGM_RSRC2:TGID_Z_EN: 0
; COMPUTE_PGM_RSRC2:TIDIG_COMP_CNT: 0
	.section	.text._Z11rank_kernelILj464ELj2ELj4ELb1EL18RadixRankAlgorithm0EcEvPKT4_Pijj,"axG",@progbits,_Z11rank_kernelILj464ELj2ELj4ELb1EL18RadixRankAlgorithm0EcEvPKT4_Pijj,comdat
	.protected	_Z11rank_kernelILj464ELj2ELj4ELb1EL18RadixRankAlgorithm0EcEvPKT4_Pijj ; -- Begin function _Z11rank_kernelILj464ELj2ELj4ELb1EL18RadixRankAlgorithm0EcEvPKT4_Pijj
	.globl	_Z11rank_kernelILj464ELj2ELj4ELb1EL18RadixRankAlgorithm0EcEvPKT4_Pijj
	.p2align	8
	.type	_Z11rank_kernelILj464ELj2ELj4ELb1EL18RadixRankAlgorithm0EcEvPKT4_Pijj,@function
_Z11rank_kernelILj464ELj2ELj4ELb1EL18RadixRankAlgorithm0EcEvPKT4_Pijj: ; @_Z11rank_kernelILj464ELj2ELj4ELb1EL18RadixRankAlgorithm0EcEvPKT4_Pijj
; %bb.0:
	s_load_b128 s[4:7], s[0:1], 0x0
	s_mul_i32 s8, s15, 0x3a0
	v_lshlrev_b32_e32 v1, 1, v0
	v_dual_mov_b32 v3, 0 :: v_dual_lshlrev_b32 v4, 2, v0
	v_add_nc_u32_e32 v5, 0xfffffe30, v0
	s_mov_b32 s9, 0
	s_waitcnt lgkmcnt(0)
	s_add_u32 s2, s4, s8
	s_addc_u32 s3, s5, 0
	global_load_u16 v2, v1, s[2:3]
	s_mov_b32 s2, s9
.LBB9_1:                                ; =>This Inner Loop Header: Depth=1
	v_add_nc_u32_e32 v5, 0x1d0, v5
	ds_store_b32 v4, v3
	v_add_nc_u32_e32 v4, 0x740, v4
	v_cmp_lt_u32_e32 vcc_lo, 0xcaf, v5
	s_or_b32 s2, vcc_lo, s2
	s_delay_alu instid0(SALU_CYCLE_1)
	s_and_not1_b32 exec_lo, exec_lo, s2
	s_cbranch_execnz .LBB9_1
; %bb.2:
	s_or_b32 exec_lo, exec_lo, s2
	s_load_b64 s[0:1], s[0:1], 0x10
	s_waitcnt vmcnt(0)
	v_xor_b32_e32 v3, 0x80, v2
	v_lshrrev_b16 v2, 8, v2
	s_mov_b32 s4, exec_lo
	s_delay_alu instid0(VALU_DEP_2) | instskip(NEXT) | instid1(VALU_DEP_2)
	v_and_b32_e32 v3, 0xff, v3
	v_xor_b32_e32 v2, 0x80, v2
	s_delay_alu instid0(VALU_DEP_1) | instskip(SKIP_2) | instid1(SALU_CYCLE_1)
	v_and_b32_e32 v2, 0xffff, v2
	s_waitcnt lgkmcnt(0)
	s_and_b32 s1, s1, 31
	s_cmp_eq_u32 s1, 0
	s_cselect_b32 s2, -1, 0
	s_and_b32 s0, s0, 31
	s_delay_alu instid0(SALU_CYCLE_1) | instskip(SKIP_2) | instid1(SALU_CYCLE_1)
	s_add_i32 s0, s0, s1
	s_sub_i32 s1, 32, s1
	s_sub_i32 s0, 32, s0
	v_lshlrev_b32_e32 v3, s0, v3
	v_lshlrev_b32_e32 v2, s0, v2
	s_delay_alu instid0(VALU_DEP_2) | instskip(NEXT) | instid1(VALU_DEP_2)
	v_bfe_u32 v3, v3, s1, 8
	v_bfe_u32 v2, v2, s1, 8
	s_delay_alu instid0(VALU_DEP_2) | instskip(NEXT) | instid1(VALU_DEP_1)
	v_xor_b32_e32 v3, 15, v3
	v_cndmask_b32_e64 v3, v3, 15, s2
	s_delay_alu instid0(VALU_DEP_1) | instskip(SKIP_1) | instid1(VALU_DEP_2)
	v_and_b32_e32 v4, 7, v3
	v_lshrrev_b32_e32 v3, 3, v3
	v_mul_u32_u24_e32 v4, 0x1d0, v4
	s_delay_alu instid0(VALU_DEP_1) | instskip(NEXT) | instid1(VALU_DEP_1)
	v_add_lshl_u32 v4, v4, v0, 1
	v_add_lshl_u32 v3, v4, v3, 1
	v_xor_b32_e32 v4, 15, v2
	ds_load_u16 v2, v3
	v_cndmask_b32_e64 v4, v4, 15, s2
	s_delay_alu instid0(VALU_DEP_1) | instskip(SKIP_1) | instid1(VALU_DEP_2)
	v_and_b32_e32 v5, 7, v4
	v_lshrrev_b32_e32 v4, 3, v4
	v_mul_u32_u24_e32 v5, 0x1d0, v5
	s_delay_alu instid0(VALU_DEP_1) | instskip(SKIP_2) | instid1(VALU_DEP_2)
	v_add_lshl_u32 v5, v5, v0, 1
	s_waitcnt lgkmcnt(0)
	v_add_nc_u16 v6, v2, 1
	v_add_lshl_u32 v4, v5, v4, 1
	ds_store_b16 v3, v6
	ds_load_u16 v5, v4
	v_lshlrev_b32_e32 v6, 5, v0
	s_waitcnt lgkmcnt(0)
	v_add_nc_u16 v7, v5, 1
	ds_store_b16 v4, v7
	s_waitcnt lgkmcnt(0)
	s_barrier
	buffer_gl0_inv
	ds_load_2addr_b32 v[7:8], v6 offset1:1
	ds_load_2addr_b32 v[9:10], v6 offset0:2 offset1:3
	ds_load_2addr_b32 v[11:12], v6 offset0:4 offset1:5
	;; [unrolled: 1-line block ×3, first 2 shown]
	s_waitcnt lgkmcnt(3)
	v_add_nc_u32_e32 v7, v8, v7
	s_waitcnt lgkmcnt(2)
	s_delay_alu instid0(VALU_DEP_1) | instskip(SKIP_1) | instid1(VALU_DEP_1)
	v_add3_u32 v7, v7, v9, v10
	s_waitcnt lgkmcnt(1)
	v_add3_u32 v8, v7, v11, v12
	v_mbcnt_lo_u32_b32 v7, -1, 0
	s_waitcnt lgkmcnt(0)
	s_delay_alu instid0(VALU_DEP_2) | instskip(NEXT) | instid1(VALU_DEP_2)
	v_add3_u32 v8, v8, v13, v14
	v_and_b32_e32 v9, 15, v7
	v_bfe_i32 v11, v7, 4, 1
	s_delay_alu instid0(VALU_DEP_3) | instskip(NEXT) | instid1(VALU_DEP_3)
	v_mov_b32_dpp v10, v8 row_shr:1 row_mask:0xf bank_mask:0xf
	v_cmp_eq_u32_e32 vcc_lo, 0, v9
	v_cmp_lt_u32_e64 s0, 1, v9
	v_cmp_lt_u32_e64 s1, 3, v9
	;; [unrolled: 1-line block ×3, first 2 shown]
	v_cndmask_b32_e64 v10, v10, 0, vcc_lo
	s_delay_alu instid0(VALU_DEP_1) | instskip(NEXT) | instid1(VALU_DEP_1)
	v_add_nc_u32_e32 v8, v10, v8
	v_mov_b32_dpp v10, v8 row_shr:2 row_mask:0xf bank_mask:0xf
	s_delay_alu instid0(VALU_DEP_1) | instskip(NEXT) | instid1(VALU_DEP_1)
	v_cndmask_b32_e64 v10, 0, v10, s0
	v_add_nc_u32_e32 v8, v8, v10
	s_delay_alu instid0(VALU_DEP_1) | instskip(NEXT) | instid1(VALU_DEP_1)
	v_mov_b32_dpp v10, v8 row_shr:4 row_mask:0xf bank_mask:0xf
	v_cndmask_b32_e64 v10, 0, v10, s1
	s_delay_alu instid0(VALU_DEP_1) | instskip(NEXT) | instid1(VALU_DEP_1)
	v_add_nc_u32_e32 v8, v8, v10
	v_mov_b32_dpp v10, v8 row_shr:8 row_mask:0xf bank_mask:0xf
	s_delay_alu instid0(VALU_DEP_1) | instskip(SKIP_1) | instid1(VALU_DEP_2)
	v_cndmask_b32_e64 v9, 0, v10, s2
	v_and_b32_e32 v10, 0x1e0, v0
	v_add_nc_u32_e32 v8, v8, v9
	s_delay_alu instid0(VALU_DEP_2)
	v_min_u32_e32 v10, 0x1b0, v10
	ds_swizzle_b32 v9, v8 offset:swizzle(BROADCAST,32,15)
	v_add_nc_u32_e32 v10, 31, v10
	s_waitcnt lgkmcnt(0)
	v_and_b32_e32 v9, v11, v9
	v_lshrrev_b32_e32 v11, 5, v0
	s_delay_alu instid0(VALU_DEP_2) | instskip(NEXT) | instid1(VALU_DEP_2)
	v_add_nc_u32_e32 v8, v8, v9
	v_lshlrev_b32_e32 v9, 2, v11
	v_cmpx_eq_u32_e64 v10, v0
	s_cbranch_execz .LBB9_4
; %bb.3:
	ds_store_b32 v9, v8 offset:14848
.LBB9_4:
	s_or_b32 exec_lo, exec_lo, s4
	s_delay_alu instid0(SALU_CYCLE_1)
	s_mov_b32 s4, exec_lo
	s_waitcnt lgkmcnt(0)
	s_barrier
	buffer_gl0_inv
	v_cmpx_gt_u32_e32 15, v0
	s_cbranch_execz .LBB9_6
; %bb.5:
	v_lshlrev_b32_e32 v10, 2, v0
	ds_load_b32 v11, v10 offset:14848
	s_waitcnt lgkmcnt(0)
	v_mov_b32_dpp v12, v11 row_shr:1 row_mask:0xf bank_mask:0xf
	s_delay_alu instid0(VALU_DEP_1) | instskip(NEXT) | instid1(VALU_DEP_1)
	v_cndmask_b32_e64 v12, v12, 0, vcc_lo
	v_add_nc_u32_e32 v11, v12, v11
	s_delay_alu instid0(VALU_DEP_1) | instskip(NEXT) | instid1(VALU_DEP_1)
	v_mov_b32_dpp v12, v11 row_shr:2 row_mask:0xf bank_mask:0xf
	v_cndmask_b32_e64 v12, 0, v12, s0
	s_delay_alu instid0(VALU_DEP_1) | instskip(NEXT) | instid1(VALU_DEP_1)
	v_add_nc_u32_e32 v11, v11, v12
	v_mov_b32_dpp v12, v11 row_shr:4 row_mask:0xf bank_mask:0xf
	s_delay_alu instid0(VALU_DEP_1) | instskip(NEXT) | instid1(VALU_DEP_1)
	v_cndmask_b32_e64 v12, 0, v12, s1
	v_add_nc_u32_e32 v11, v11, v12
	s_delay_alu instid0(VALU_DEP_1) | instskip(NEXT) | instid1(VALU_DEP_1)
	v_mov_b32_dpp v12, v11 row_shr:8 row_mask:0xf bank_mask:0xf
	v_cndmask_b32_e64 v12, 0, v12, s2
	s_delay_alu instid0(VALU_DEP_1)
	v_add_nc_u32_e32 v11, v11, v12
	ds_store_b32 v10, v11 offset:14848
.LBB9_6:
	s_or_b32 exec_lo, exec_lo, s4
	v_cmp_lt_u32_e32 vcc_lo, 31, v0
	v_mov_b32_e32 v10, 0
	v_mov_b32_e32 v0, 0
	s_waitcnt lgkmcnt(0)
	s_barrier
	buffer_gl0_inv
	s_and_saveexec_b32 s0, vcc_lo
	s_cbranch_execz .LBB9_8
; %bb.7:
	ds_load_b32 v0, v9 offset:14844
.LBB9_8:
	s_or_b32 exec_lo, exec_lo, s0
	v_add_nc_u32_e32 v9, -1, v7
	v_and_b32_e32 v2, 0xffff, v2
	s_lshl_b64 s[0:1], s[8:9], 2
	s_waitcnt lgkmcnt(0)
	v_add_nc_u32_e32 v8, v0, v8
	s_add_u32 s0, s6, s0
	v_cmp_gt_i32_e32 vcc_lo, 0, v9
	s_addc_u32 s1, s7, s1
	v_cndmask_b32_e32 v9, v9, v7, vcc_lo
	v_cmp_eq_u32_e32 vcc_lo, 0, v7
	s_delay_alu instid0(VALU_DEP_2)
	v_lshlrev_b32_e32 v9, 2, v9
	ds_bpermute_b32 v11, v9, v8
	ds_load_b32 v12, v10 offset:14904
	ds_load_2addr_b32 v[8:9], v6 offset1:1
	s_waitcnt lgkmcnt(2)
	v_cndmask_b32_e32 v0, v11, v0, vcc_lo
	ds_load_2addr_b32 v[10:11], v6 offset0:2 offset1:3
	s_waitcnt lgkmcnt(2)
	v_lshl_add_u32 v0, v12, 16, v0
	ds_load_2addr_b32 v[12:13], v6 offset0:4 offset1:5
	ds_load_b32 v7, v6 offset:24
	s_waitcnt lgkmcnt(3)
	v_add_nc_u32_e32 v8, v0, v8
	s_delay_alu instid0(VALU_DEP_1) | instskip(SKIP_1) | instid1(VALU_DEP_1)
	v_add_nc_u32_e32 v9, v9, v8
	s_waitcnt lgkmcnt(2)
	v_add_nc_u32_e32 v10, v10, v9
	s_delay_alu instid0(VALU_DEP_1) | instskip(SKIP_1) | instid1(VALU_DEP_1)
	v_add_nc_u32_e32 v11, v11, v10
	;; [unrolled: 4-line block ×3, first 2 shown]
	s_waitcnt lgkmcnt(0)
	v_add_nc_u32_e32 v7, v7, v13
	ds_store_2addr_b32 v6, v0, v8 offset1:1
	ds_store_2addr_b32 v6, v9, v10 offset0:2 offset1:3
	ds_store_2addr_b32 v6, v11, v12 offset0:4 offset1:5
	;; [unrolled: 1-line block ×3, first 2 shown]
	s_waitcnt lgkmcnt(0)
	s_barrier
	buffer_gl0_inv
	ds_load_u16 v0, v3
	ds_load_u16 v3, v4
	v_and_b32_e32 v4, 0xffff, v5
	s_waitcnt lgkmcnt(1)
	v_add_nc_u32_e32 v2, v0, v2
	s_waitcnt lgkmcnt(0)
	s_delay_alu instid0(VALU_DEP_2)
	v_add_nc_u32_e32 v3, v3, v4
	v_lshlrev_b32_e32 v0, 2, v1
	global_store_b64 v0, v[2:3], s[0:1]
	s_nop 0
	s_sendmsg sendmsg(MSG_DEALLOC_VGPRS)
	s_endpgm
	.section	.rodata,"a",@progbits
	.p2align	6, 0x0
	.amdhsa_kernel _Z11rank_kernelILj464ELj2ELj4ELb1EL18RadixRankAlgorithm0EcEvPKT4_Pijj
		.amdhsa_group_segment_fixed_size 14912
		.amdhsa_private_segment_fixed_size 0
		.amdhsa_kernarg_size 24
		.amdhsa_user_sgpr_count 15
		.amdhsa_user_sgpr_dispatch_ptr 0
		.amdhsa_user_sgpr_queue_ptr 0
		.amdhsa_user_sgpr_kernarg_segment_ptr 1
		.amdhsa_user_sgpr_dispatch_id 0
		.amdhsa_user_sgpr_private_segment_size 0
		.amdhsa_wavefront_size32 1
		.amdhsa_uses_dynamic_stack 0
		.amdhsa_enable_private_segment 0
		.amdhsa_system_sgpr_workgroup_id_x 1
		.amdhsa_system_sgpr_workgroup_id_y 0
		.amdhsa_system_sgpr_workgroup_id_z 0
		.amdhsa_system_sgpr_workgroup_info 0
		.amdhsa_system_vgpr_workitem_id 0
		.amdhsa_next_free_vgpr 15
		.amdhsa_next_free_sgpr 16
		.amdhsa_reserve_vcc 1
		.amdhsa_float_round_mode_32 0
		.amdhsa_float_round_mode_16_64 0
		.amdhsa_float_denorm_mode_32 3
		.amdhsa_float_denorm_mode_16_64 3
		.amdhsa_dx10_clamp 1
		.amdhsa_ieee_mode 1
		.amdhsa_fp16_overflow 0
		.amdhsa_workgroup_processor_mode 1
		.amdhsa_memory_ordered 1
		.amdhsa_forward_progress 0
		.amdhsa_shared_vgpr_count 0
		.amdhsa_exception_fp_ieee_invalid_op 0
		.amdhsa_exception_fp_denorm_src 0
		.amdhsa_exception_fp_ieee_div_zero 0
		.amdhsa_exception_fp_ieee_overflow 0
		.amdhsa_exception_fp_ieee_underflow 0
		.amdhsa_exception_fp_ieee_inexact 0
		.amdhsa_exception_int_div_zero 0
	.end_amdhsa_kernel
	.section	.text._Z11rank_kernelILj464ELj2ELj4ELb1EL18RadixRankAlgorithm0EcEvPKT4_Pijj,"axG",@progbits,_Z11rank_kernelILj464ELj2ELj4ELb1EL18RadixRankAlgorithm0EcEvPKT4_Pijj,comdat
.Lfunc_end9:
	.size	_Z11rank_kernelILj464ELj2ELj4ELb1EL18RadixRankAlgorithm0EcEvPKT4_Pijj, .Lfunc_end9-_Z11rank_kernelILj464ELj2ELj4ELb1EL18RadixRankAlgorithm0EcEvPKT4_Pijj
                                        ; -- End function
	.section	.AMDGPU.csdata,"",@progbits
; Kernel info:
; codeLenInByte = 1248
; NumSgprs: 18
; NumVgprs: 15
; ScratchSize: 0
; MemoryBound: 0
; FloatMode: 240
; IeeeMode: 1
; LDSByteSize: 14912 bytes/workgroup (compile time only)
; SGPRBlocks: 2
; VGPRBlocks: 1
; NumSGPRsForWavesPerEU: 18
; NumVGPRsForWavesPerEU: 15
; Occupancy: 15
; WaveLimiterHint : 0
; COMPUTE_PGM_RSRC2:SCRATCH_EN: 0
; COMPUTE_PGM_RSRC2:USER_SGPR: 15
; COMPUTE_PGM_RSRC2:TRAP_HANDLER: 0
; COMPUTE_PGM_RSRC2:TGID_X_EN: 1
; COMPUTE_PGM_RSRC2:TGID_Y_EN: 0
; COMPUTE_PGM_RSRC2:TGID_Z_EN: 0
; COMPUTE_PGM_RSRC2:TIDIG_COMP_CNT: 0
	.section	.text._Z11rank_kernelILj33ELj5ELj4ELb0EL18RadixRankAlgorithm0EdEvPKT4_Pijj,"axG",@progbits,_Z11rank_kernelILj33ELj5ELj4ELb0EL18RadixRankAlgorithm0EdEvPKT4_Pijj,comdat
	.protected	_Z11rank_kernelILj33ELj5ELj4ELb0EL18RadixRankAlgorithm0EdEvPKT4_Pijj ; -- Begin function _Z11rank_kernelILj33ELj5ELj4ELb0EL18RadixRankAlgorithm0EdEvPKT4_Pijj
	.globl	_Z11rank_kernelILj33ELj5ELj4ELb0EL18RadixRankAlgorithm0EdEvPKT4_Pijj
	.p2align	8
	.type	_Z11rank_kernelILj33ELj5ELj4ELb0EL18RadixRankAlgorithm0EdEvPKT4_Pijj,@function
_Z11rank_kernelILj33ELj5ELj4ELb0EL18RadixRankAlgorithm0EdEvPKT4_Pijj: ; @_Z11rank_kernelILj33ELj5ELj4ELb0EL18RadixRankAlgorithm0EdEvPKT4_Pijj
; %bb.0:
	s_load_b128 s[4:7], s[0:1], 0x0
	v_mul_u32_u24_e32 v14, 5, v0
	s_mov_b32 s3, 0
	s_mul_i32 s2, s15, 0xa5
	v_lshlrev_b32_e32 v15, 2, v0
	s_lshl_b64 s[8:9], s[2:3], 3
	v_lshlrev_b32_e32 v5, 3, v14
	s_waitcnt lgkmcnt(0)
	s_add_u32 s4, s4, s8
	s_addc_u32 s5, s5, s9
	s_clause 0x2
	global_load_b64 v[9:10], v5, s[4:5] offset:32
	global_load_b128 v[1:4], v5, s[4:5] offset:16
	global_load_b128 v[5:8], v5, s[4:5]
	s_mov_b32 s4, exec_lo
	v_cmpx_gt_u32_e32 0x108, v0
	s_cbranch_execz .LBB10_3
; %bb.1:
	v_subrev_nc_u32_e32 v11, 33, v0
	v_dual_mov_b32 v12, 0 :: v_dual_mov_b32 v13, v15
	s_mov_b32 s5, s3
.LBB10_2:                               ; =>This Inner Loop Header: Depth=1
	s_delay_alu instid0(VALU_DEP_2) | instskip(SKIP_4) | instid1(SALU_CYCLE_1)
	v_add_nc_u32_e32 v11, 33, v11
	ds_store_b32 v13, v12
	v_add_nc_u32_e32 v13, 0x84, v13
	v_cmp_lt_u32_e32 vcc_lo, 0xe6, v11
	s_or_b32 s5, vcc_lo, s5
	s_and_not1_b32 exec_lo, exec_lo, s5
	s_cbranch_execnz .LBB10_2
.LBB10_3:
	s_or_b32 exec_lo, exec_lo, s4
	s_load_b64 s[0:1], s[0:1], 0x10
	v_dual_mov_b32 v11, 0 :: v_dual_mov_b32 v12, 0
	s_waitcnt lgkmcnt(0)
	s_and_b32 s1, s1, 63
	s_delay_alu instid0(SALU_CYCLE_1)
	s_cmp_lg_u32 s1, 0
	s_cselect_b32 s5, -1, 0
	s_sub_u32 s4, 64, s1
	s_and_b32 vcc_lo, exec_lo, s5
	s_cbranch_vccz .LBB10_5
; %bb.4:
	s_waitcnt vmcnt(0)
	v_cmp_lt_i64_e32 vcc_lo, -1, v[5:6]
	v_ashrrev_i32_e32 v13, 31, v6
	s_mov_b32 s8, -1
	s_brev_b32 s9, -2
	s_delay_alu instid0(VALU_DEP_1) | instskip(SKIP_1) | instid1(VALU_DEP_1)
	v_xor_b32_e32 v5, v13, v5
	v_cndmask_b32_e64 v12, -1, 0x80000000, vcc_lo
	v_xor_b32_e32 v6, v12, v6
	s_delay_alu instid0(VALU_DEP_1) | instskip(SKIP_1) | instid1(SALU_CYCLE_1)
	v_cmp_ne_u64_e32 vcc_lo, s[8:9], v[5:6]
	s_and_b32 s8, s0, 63
	s_add_i32 s8, s8, s1
	s_delay_alu instid0(SALU_CYCLE_1) | instskip(SKIP_2) | instid1(VALU_DEP_1)
	s_sub_i32 s8, 64, s8
	v_cndmask_b32_e32 v6, 0x80000000, v6, vcc_lo
	v_cndmask_b32_e32 v5, 0, v5, vcc_lo
	v_lshlrev_b64 v[5:6], s8, v[5:6]
	s_delay_alu instid0(VALU_DEP_1)
	v_lshrrev_b64 v[12:13], s4, v[5:6]
.LBB10_5:
	s_waitcnt vmcnt(0)
	s_delay_alu instid0(VALU_DEP_1) | instskip(SKIP_3) | instid1(VALU_DEP_3)
	v_and_b32_e32 v5, 7, v12
	v_lshrrev_b32_e32 v6, 3, v12
	v_cndmask_b32_e64 v17, 0, 1, s5
	s_and_not1_b32 vcc_lo, exec_lo, s5
	v_mul_u32_u24_e32 v5, 33, v5
	s_delay_alu instid0(VALU_DEP_1) | instskip(NEXT) | instid1(VALU_DEP_1)
	v_add_lshl_u32 v5, v5, v0, 1
	v_add_lshl_u32 v16, v5, v6, 1
	v_mov_b32_e32 v5, 0
	ds_load_u16 v13, v16
	s_waitcnt lgkmcnt(0)
	v_add_nc_u16 v6, v13, 1
	ds_store_b16 v16, v6
	s_cbranch_vccnz .LBB10_7
; %bb.6:
	v_cmp_lt_i64_e32 vcc_lo, -1, v[7:8]
	v_ashrrev_i32_e32 v12, 31, v8
	s_mov_b32 s8, -1
	s_brev_b32 s9, -2
	s_and_b32 s5, s0, 63
	s_delay_alu instid0(SALU_CYCLE_1) | instskip(SKIP_2) | instid1(VALU_DEP_1)
	s_add_i32 s5, s5, s1
	v_cndmask_b32_e64 v5, -1, 0x80000000, vcc_lo
	s_sub_i32 s5, 64, s5
	v_xor_b32_e32 v6, v5, v8
	v_xor_b32_e32 v5, v12, v7
	s_delay_alu instid0(VALU_DEP_1) | instskip(SKIP_2) | instid1(VALU_DEP_1)
	v_cmp_ne_u64_e32 vcc_lo, s[8:9], v[5:6]
	v_cndmask_b32_e32 v6, 0x80000000, v6, vcc_lo
	v_cndmask_b32_e32 v5, 0, v5, vcc_lo
	v_lshlrev_b64 v[5:6], s5, v[5:6]
	s_delay_alu instid0(VALU_DEP_1)
	v_lshrrev_b64 v[5:6], s4, v[5:6]
.LBB10_7:
	s_delay_alu instid0(VALU_DEP_1) | instskip(SKIP_2) | instid1(VALU_DEP_3)
	v_and_b32_e32 v6, 7, v5
	v_lshrrev_b32_e32 v5, 3, v5
	v_cmp_ne_u32_e32 vcc_lo, 1, v17
	v_mul_u32_u24_e32 v6, 33, v6
	s_and_b32 vcc_lo, exec_lo, vcc_lo
	s_delay_alu instid0(VALU_DEP_1) | instskip(NEXT) | instid1(VALU_DEP_1)
	v_add_lshl_u32 v6, v6, v0, 1
	v_add_lshl_u32 v6, v6, v5, 1
	ds_load_u16 v5, v6
	s_waitcnt lgkmcnt(0)
	v_add_nc_u16 v7, v5, 1
	ds_store_b16 v6, v7
	s_cbranch_vccnz .LBB10_9
; %bb.8:
	v_cmp_lt_i64_e32 vcc_lo, -1, v[1:2]
	v_ashrrev_i32_e32 v8, 31, v2
	s_mov_b32 s8, -1
	s_brev_b32 s9, -2
	s_and_b32 s5, s0, 63
	s_delay_alu instid0(VALU_DEP_1) | instskip(SKIP_2) | instid1(SALU_CYCLE_1)
	v_xor_b32_e32 v1, v8, v1
	v_cndmask_b32_e64 v7, -1, 0x80000000, vcc_lo
	s_add_i32 s5, s5, s1
	s_sub_i32 s5, 64, s5
	s_delay_alu instid0(VALU_DEP_1) | instskip(NEXT) | instid1(VALU_DEP_1)
	v_xor_b32_e32 v2, v7, v2
	v_cmp_ne_u64_e32 vcc_lo, s[8:9], v[1:2]
	v_cndmask_b32_e32 v2, 0x80000000, v2, vcc_lo
	v_cndmask_b32_e32 v1, 0, v1, vcc_lo
	s_delay_alu instid0(VALU_DEP_1) | instskip(NEXT) | instid1(VALU_DEP_1)
	v_lshlrev_b64 v[1:2], s5, v[1:2]
	v_lshrrev_b64 v[11:12], s4, v[1:2]
.LBB10_9:
	s_delay_alu instid0(VALU_DEP_1) | instskip(SKIP_2) | instid1(VALU_DEP_3)
	v_and_b32_e32 v1, 7, v11
	v_lshrrev_b32_e32 v2, 3, v11
	v_cmp_ne_u32_e32 vcc_lo, 1, v17
	v_mul_u32_u24_e32 v1, 33, v1
	s_and_b32 vcc_lo, exec_lo, vcc_lo
	s_delay_alu instid0(VALU_DEP_1) | instskip(NEXT) | instid1(VALU_DEP_1)
	v_add_lshl_u32 v1, v1, v0, 1
	v_add_lshl_u32 v8, v1, v2, 1
	v_dual_mov_b32 v2, 0 :: v_dual_mov_b32 v1, 0
	ds_load_u16 v7, v8
	s_waitcnt lgkmcnt(0)
	v_add_nc_u16 v11, v7, 1
	ds_store_b16 v8, v11
	s_cbranch_vccnz .LBB10_11
; %bb.10:
	v_cmp_lt_i64_e32 vcc_lo, -1, v[3:4]
	v_ashrrev_i32_e32 v11, 31, v4
	s_mov_b32 s8, -1
	s_brev_b32 s9, -2
	s_and_b32 s5, s0, 63
	s_delay_alu instid0(VALU_DEP_1) | instskip(SKIP_2) | instid1(SALU_CYCLE_1)
	v_xor_b32_e32 v3, v11, v3
	v_cndmask_b32_e64 v2, -1, 0x80000000, vcc_lo
	s_add_i32 s5, s5, s1
	s_sub_i32 s5, 64, s5
	s_delay_alu instid0(VALU_DEP_1) | instskip(NEXT) | instid1(VALU_DEP_1)
	v_xor_b32_e32 v4, v2, v4
	v_cmp_ne_u64_e32 vcc_lo, s[8:9], v[3:4]
	v_cndmask_b32_e32 v4, 0x80000000, v4, vcc_lo
	v_cndmask_b32_e32 v3, 0, v3, vcc_lo
	s_delay_alu instid0(VALU_DEP_1) | instskip(NEXT) | instid1(VALU_DEP_1)
	v_lshlrev_b64 v[2:3], s5, v[3:4]
	v_lshrrev_b64 v[2:3], s4, v[2:3]
.LBB10_11:
	s_delay_alu instid0(VALU_DEP_1) | instskip(SKIP_2) | instid1(VALU_DEP_3)
	v_and_b32_e32 v3, 7, v2
	v_lshrrev_b32_e32 v2, 3, v2
	v_cmp_ne_u32_e32 vcc_lo, 1, v17
	v_mul_u32_u24_e32 v3, 33, v3
	s_and_b32 vcc_lo, exec_lo, vcc_lo
	s_delay_alu instid0(VALU_DEP_1) | instskip(NEXT) | instid1(VALU_DEP_1)
	v_add_lshl_u32 v3, v3, v0, 1
	v_add_lshl_u32 v4, v3, v2, 1
	ds_load_u16 v3, v4
	s_waitcnt lgkmcnt(0)
	v_add_nc_u16 v2, v3, 1
	ds_store_b16 v4, v2
	s_cbranch_vccnz .LBB10_13
; %bb.12:
	v_cmp_lt_i64_e32 vcc_lo, -1, v[9:10]
	v_ashrrev_i32_e32 v11, 31, v10
	s_mov_b32 s8, -1
	s_brev_b32 s9, -2
	s_and_b32 s0, s0, 63
	s_delay_alu instid0(SALU_CYCLE_1) | instskip(SKIP_2) | instid1(VALU_DEP_1)
	s_add_i32 s0, s0, s1
	v_cndmask_b32_e64 v1, -1, 0x80000000, vcc_lo
	s_sub_i32 s0, 64, s0
	v_xor_b32_e32 v2, v1, v10
	v_xor_b32_e32 v1, v11, v9
	s_delay_alu instid0(VALU_DEP_1) | instskip(SKIP_2) | instid1(VALU_DEP_1)
	v_cmp_ne_u64_e32 vcc_lo, s[8:9], v[1:2]
	v_cndmask_b32_e32 v2, 0x80000000, v2, vcc_lo
	v_cndmask_b32_e32 v1, 0, v1, vcc_lo
	v_lshlrev_b64 v[1:2], s0, v[1:2]
	s_delay_alu instid0(VALU_DEP_1)
	v_lshrrev_b64 v[1:2], s4, v[1:2]
.LBB10_13:
	s_delay_alu instid0(VALU_DEP_1) | instskip(SKIP_2) | instid1(VALU_DEP_3)
	v_and_b32_e32 v2, 7, v1
	v_lshrrev_b32_e32 v1, 3, v1
	v_lshlrev_b32_e32 v9, 5, v0
	v_mul_u32_u24_e32 v2, 33, v2
	s_delay_alu instid0(VALU_DEP_1) | instskip(NEXT) | instid1(VALU_DEP_1)
	v_add_lshl_u32 v2, v2, v0, 1
	v_add_lshl_u32 v1, v2, v1, 1
	ds_load_u16 v2, v1
	s_waitcnt lgkmcnt(0)
	v_add_nc_u16 v10, v2, 1
	ds_store_b16 v1, v10
	s_waitcnt lgkmcnt(0)
	s_barrier
	buffer_gl0_inv
	ds_load_2addr_b32 v[10:11], v9 offset1:1
	ds_load_2addr_b32 v[17:18], v9 offset0:2 offset1:3
	ds_load_2addr_b32 v[19:20], v9 offset0:4 offset1:5
	;; [unrolled: 1-line block ×3, first 2 shown]
	s_waitcnt lgkmcnt(3)
	v_add_nc_u32_e32 v10, v11, v10
	s_waitcnt lgkmcnt(2)
	s_delay_alu instid0(VALU_DEP_1) | instskip(SKIP_1) | instid1(VALU_DEP_1)
	v_add3_u32 v10, v10, v17, v18
	s_waitcnt lgkmcnt(1)
	v_add3_u32 v11, v10, v19, v20
	v_mbcnt_lo_u32_b32 v10, -1, 0
	s_waitcnt lgkmcnt(0)
	s_delay_alu instid0(VALU_DEP_2) | instskip(NEXT) | instid1(VALU_DEP_2)
	v_add3_u32 v11, v11, v21, v22
	v_and_b32_e32 v12, 15, v10
	s_delay_alu instid0(VALU_DEP_2) | instskip(NEXT) | instid1(VALU_DEP_2)
	v_mov_b32_dpp v17, v11 row_shr:1 row_mask:0xf bank_mask:0xf
	v_cmp_ne_u32_e32 vcc_lo, 0, v12
	s_delay_alu instid0(VALU_DEP_2) | instskip(SKIP_1) | instid1(VALU_DEP_2)
	v_cndmask_b32_e32 v17, 0, v17, vcc_lo
	v_cmp_lt_u32_e32 vcc_lo, 1, v12
	v_add_nc_u32_e32 v11, v17, v11
	s_delay_alu instid0(VALU_DEP_1) | instskip(NEXT) | instid1(VALU_DEP_1)
	v_mov_b32_dpp v17, v11 row_shr:2 row_mask:0xf bank_mask:0xf
	v_cndmask_b32_e32 v17, 0, v17, vcc_lo
	v_cmp_lt_u32_e32 vcc_lo, 3, v12
	s_delay_alu instid0(VALU_DEP_2) | instskip(NEXT) | instid1(VALU_DEP_1)
	v_add_nc_u32_e32 v11, v11, v17
	v_mov_b32_dpp v17, v11 row_shr:4 row_mask:0xf bank_mask:0xf
	s_delay_alu instid0(VALU_DEP_1) | instskip(SKIP_1) | instid1(VALU_DEP_2)
	v_cndmask_b32_e32 v17, 0, v17, vcc_lo
	v_cmp_lt_u32_e32 vcc_lo, 7, v12
	v_add_nc_u32_e32 v11, v11, v17
	s_delay_alu instid0(VALU_DEP_1) | instskip(NEXT) | instid1(VALU_DEP_1)
	v_mov_b32_dpp v17, v11 row_shr:8 row_mask:0xf bank_mask:0xf
	v_cndmask_b32_e32 v12, 0, v17, vcc_lo
	v_bfe_i32 v17, v10, 4, 1
	v_cmp_gt_u32_e32 vcc_lo, 32, v0
	s_delay_alu instid0(VALU_DEP_3)
	v_add_nc_u32_e32 v11, v11, v12
	v_cndmask_b32_e64 v18, 32, 31, vcc_lo
	v_cmp_lt_u32_e32 vcc_lo, 31, v0
	ds_swizzle_b32 v12, v11 offset:swizzle(BROADCAST,32,15)
	v_cmp_eq_u32_e64 s0, v18, v0
	s_waitcnt lgkmcnt(0)
	v_and_b32_e32 v12, v17, v12
	v_lshrrev_b32_e32 v17, 5, v0
	s_delay_alu instid0(VALU_DEP_2) | instskip(NEXT) | instid1(VALU_DEP_2)
	v_add_nc_u32_e32 v11, v11, v12
	v_lshlrev_b32_e32 v12, 2, v17
	s_and_saveexec_b32 s1, s0
	s_delay_alu instid0(SALU_CYCLE_1)
	s_xor_b32 s0, exec_lo, s1
	s_cbranch_execz .LBB10_15
; %bb.14:
	ds_store_b32 v12, v11 offset:1056
.LBB10_15:
	s_or_b32 exec_lo, exec_lo, s0
	s_delay_alu instid0(SALU_CYCLE_1)
	s_mov_b32 s1, exec_lo
	s_waitcnt lgkmcnt(0)
	s_barrier
	buffer_gl0_inv
	v_cmpx_gt_u32_e32 2, v0
	s_cbranch_execz .LBB10_17
; %bb.16:
	ds_load_b32 v0, v15 offset:1056
	v_bfe_i32 v17, v10, 0, 1
	s_waitcnt lgkmcnt(0)
	v_mov_b32_dpp v18, v0 row_shr:1 row_mask:0xf bank_mask:0xf
	s_delay_alu instid0(VALU_DEP_1) | instskip(NEXT) | instid1(VALU_DEP_1)
	v_and_b32_e32 v17, v17, v18
	v_add_nc_u32_e32 v0, v17, v0
	ds_store_b32 v15, v0 offset:1056
.LBB10_17:
	s_or_b32 exec_lo, exec_lo, s1
	v_dual_mov_b32 v15, 0 :: v_dual_mov_b32 v0, 0
	s_waitcnt lgkmcnt(0)
	s_barrier
	buffer_gl0_inv
	s_and_saveexec_b32 s0, vcc_lo
	s_cbranch_execz .LBB10_19
; %bb.18:
	ds_load_b32 v0, v12 offset:1052
.LBB10_19:
	s_or_b32 exec_lo, exec_lo, s0
	v_add_nc_u32_e32 v12, -1, v10
	v_and_b32_e32 v3, 0xffff, v3
	s_lshl_b64 s[0:1], s[2:3], 2
	s_delay_alu instid0(SALU_CYCLE_1) | instskip(NEXT) | instid1(VALU_DEP_2)
	s_add_u32 s0, s6, s0
	v_cmp_gt_i32_e32 vcc_lo, 0, v12
	s_addc_u32 s1, s7, s1
	v_cndmask_b32_e32 v12, v12, v10, vcc_lo
	v_cmp_eq_u32_e32 vcc_lo, 0, v10
	s_waitcnt lgkmcnt(0)
	v_add_nc_u32_e32 v11, v0, v11
	s_delay_alu instid0(VALU_DEP_3)
	v_lshlrev_b32_e32 v12, 2, v12
	ds_bpermute_b32 v17, v12, v11
	ds_load_b32 v15, v15 offset:1060
	ds_load_2addr_b32 v[11:12], v9 offset1:1
	s_waitcnt lgkmcnt(2)
	v_cndmask_b32_e32 v0, v17, v0, vcc_lo
	ds_load_2addr_b32 v[17:18], v9 offset0:2 offset1:3
	ds_load_2addr_b32 v[19:20], v9 offset0:4 offset1:5
	ds_load_b32 v10, v9 offset:24
	s_waitcnt lgkmcnt(4)
	v_lshl_add_u32 v0, v15, 16, v0
	s_waitcnt lgkmcnt(3)
	s_delay_alu instid0(VALU_DEP_1) | instskip(NEXT) | instid1(VALU_DEP_1)
	v_add_nc_u32_e32 v11, v0, v11
	v_add_nc_u32_e32 v12, v12, v11
	s_waitcnt lgkmcnt(2)
	s_delay_alu instid0(VALU_DEP_1) | instskip(NEXT) | instid1(VALU_DEP_1)
	v_add_nc_u32_e32 v15, v17, v12
	v_add_nc_u32_e32 v17, v18, v15
	;; [unrolled: 4-line block ×3, first 2 shown]
	s_waitcnt lgkmcnt(0)
	s_delay_alu instid0(VALU_DEP_1)
	v_add_nc_u32_e32 v10, v10, v19
	ds_store_2addr_b32 v9, v0, v11 offset1:1
	ds_store_2addr_b32 v9, v12, v15 offset0:2 offset1:3
	ds_store_2addr_b32 v9, v17, v18 offset0:4 offset1:5
	;; [unrolled: 1-line block ×3, first 2 shown]
	s_waitcnt lgkmcnt(0)
	s_barrier
	buffer_gl0_inv
	ds_load_u16 v0, v16
	ds_load_u16 v6, v6
	;; [unrolled: 1-line block ×5, first 2 shown]
	v_and_b32_e32 v10, 0xffff, v2
	v_and_b32_e32 v1, 0xffff, v13
	;; [unrolled: 1-line block ×4, first 2 shown]
	v_lshlrev_b32_e32 v7, 2, v14
	s_waitcnt lgkmcnt(4)
	v_add_nc_u32_e32 v0, v0, v1
	s_waitcnt lgkmcnt(3)
	v_add_nc_u32_e32 v1, v6, v2
	;; [unrolled: 2-line block ×5, first 2 shown]
	s_clause 0x1
	global_store_b128 v7, v[0:3], s[0:1]
	global_store_b32 v7, v4, s[0:1] offset:16
	s_nop 0
	s_sendmsg sendmsg(MSG_DEALLOC_VGPRS)
	s_endpgm
	.section	.rodata,"a",@progbits
	.p2align	6, 0x0
	.amdhsa_kernel _Z11rank_kernelILj33ELj5ELj4ELb0EL18RadixRankAlgorithm0EdEvPKT4_Pijj
		.amdhsa_group_segment_fixed_size 1328
		.amdhsa_private_segment_fixed_size 0
		.amdhsa_kernarg_size 24
		.amdhsa_user_sgpr_count 15
		.amdhsa_user_sgpr_dispatch_ptr 0
		.amdhsa_user_sgpr_queue_ptr 0
		.amdhsa_user_sgpr_kernarg_segment_ptr 1
		.amdhsa_user_sgpr_dispatch_id 0
		.amdhsa_user_sgpr_private_segment_size 0
		.amdhsa_wavefront_size32 1
		.amdhsa_uses_dynamic_stack 0
		.amdhsa_enable_private_segment 0
		.amdhsa_system_sgpr_workgroup_id_x 1
		.amdhsa_system_sgpr_workgroup_id_y 0
		.amdhsa_system_sgpr_workgroup_id_z 0
		.amdhsa_system_sgpr_workgroup_info 0
		.amdhsa_system_vgpr_workitem_id 0
		.amdhsa_next_free_vgpr 23
		.amdhsa_next_free_sgpr 16
		.amdhsa_reserve_vcc 1
		.amdhsa_float_round_mode_32 0
		.amdhsa_float_round_mode_16_64 0
		.amdhsa_float_denorm_mode_32 3
		.amdhsa_float_denorm_mode_16_64 3
		.amdhsa_dx10_clamp 1
		.amdhsa_ieee_mode 1
		.amdhsa_fp16_overflow 0
		.amdhsa_workgroup_processor_mode 1
		.amdhsa_memory_ordered 1
		.amdhsa_forward_progress 0
		.amdhsa_shared_vgpr_count 0
		.amdhsa_exception_fp_ieee_invalid_op 0
		.amdhsa_exception_fp_denorm_src 0
		.amdhsa_exception_fp_ieee_div_zero 0
		.amdhsa_exception_fp_ieee_overflow 0
		.amdhsa_exception_fp_ieee_underflow 0
		.amdhsa_exception_fp_ieee_inexact 0
		.amdhsa_exception_int_div_zero 0
	.end_amdhsa_kernel
	.section	.text._Z11rank_kernelILj33ELj5ELj4ELb0EL18RadixRankAlgorithm0EdEvPKT4_Pijj,"axG",@progbits,_Z11rank_kernelILj33ELj5ELj4ELb0EL18RadixRankAlgorithm0EdEvPKT4_Pijj,comdat
.Lfunc_end10:
	.size	_Z11rank_kernelILj33ELj5ELj4ELb0EL18RadixRankAlgorithm0EdEvPKT4_Pijj, .Lfunc_end10-_Z11rank_kernelILj33ELj5ELj4ELb0EL18RadixRankAlgorithm0EdEvPKT4_Pijj
                                        ; -- End function
	.section	.AMDGPU.csdata,"",@progbits
; Kernel info:
; codeLenInByte = 1884
; NumSgprs: 18
; NumVgprs: 23
; ScratchSize: 0
; MemoryBound: 0
; FloatMode: 240
; IeeeMode: 1
; LDSByteSize: 1328 bytes/workgroup (compile time only)
; SGPRBlocks: 2
; VGPRBlocks: 2
; NumSGPRsForWavesPerEU: 18
; NumVGPRsForWavesPerEU: 23
; Occupancy: 16
; WaveLimiterHint : 0
; COMPUTE_PGM_RSRC2:SCRATCH_EN: 0
; COMPUTE_PGM_RSRC2:USER_SGPR: 15
; COMPUTE_PGM_RSRC2:TRAP_HANDLER: 0
; COMPUTE_PGM_RSRC2:TGID_X_EN: 1
; COMPUTE_PGM_RSRC2:TGID_Y_EN: 0
; COMPUTE_PGM_RSRC2:TGID_Z_EN: 0
; COMPUTE_PGM_RSRC2:TIDIG_COMP_CNT: 0
	.section	.text._Z11rank_kernelILj512ELj2ELj4ELb0EL18RadixRankAlgorithm0EfEvPKT4_Pijj,"axG",@progbits,_Z11rank_kernelILj512ELj2ELj4ELb0EL18RadixRankAlgorithm0EfEvPKT4_Pijj,comdat
	.protected	_Z11rank_kernelILj512ELj2ELj4ELb0EL18RadixRankAlgorithm0EfEvPKT4_Pijj ; -- Begin function _Z11rank_kernelILj512ELj2ELj4ELb0EL18RadixRankAlgorithm0EfEvPKT4_Pijj
	.globl	_Z11rank_kernelILj512ELj2ELj4ELb0EL18RadixRankAlgorithm0EfEvPKT4_Pijj
	.p2align	8
	.type	_Z11rank_kernelILj512ELj2ELj4ELb0EL18RadixRankAlgorithm0EfEvPKT4_Pijj,@function
_Z11rank_kernelILj512ELj2ELj4ELb0EL18RadixRankAlgorithm0EfEvPKT4_Pijj: ; @_Z11rank_kernelILj512ELj2ELj4ELb0EL18RadixRankAlgorithm0EfEvPKT4_Pijj
; %bb.0:
	s_load_b128 s[4:7], s[0:1], 0x0
	s_lshl_b32 s2, s15, 10
	s_mov_b32 s3, 0
	v_dual_mov_b32 v4, 0 :: v_dual_lshlrev_b32 v1, 3, v0
	s_lshl_b64 s[8:9], s[2:3], 2
	v_lshlrev_b32_e32 v3, 1, v0
	v_lshlrev_b32_e32 v5, 2, v0
	v_or_b32_e32 v6, 0xfffffe00, v0
	s_waitcnt lgkmcnt(0)
	s_add_u32 s4, s4, s8
	s_addc_u32 s5, s5, s9
	global_load_b64 v[1:2], v1, s[4:5]
.LBB11_1:                               ; =>This Inner Loop Header: Depth=1
	v_add_nc_u32_e32 v6, 0x200, v6
	ds_store_b32 v5, v4
	v_add_nc_u32_e32 v5, 0x800, v5
	v_cmp_lt_u32_e32 vcc_lo, 0xdff, v6
	s_or_b32 s3, vcc_lo, s3
	s_delay_alu instid0(SALU_CYCLE_1)
	s_and_not1_b32 exec_lo, exec_lo, s3
	s_cbranch_execnz .LBB11_1
; %bb.2:
	s_or_b32 exec_lo, exec_lo, s3
	s_load_b64 s[0:1], s[0:1], 0x10
	s_waitcnt vmcnt(0)
	v_cmp_lt_i32_e32 vcc_lo, -1, v1
	s_mov_b32 s4, exec_lo
	v_cndmask_b32_e64 v4, -1, 0x80000000, vcc_lo
	s_delay_alu instid0(VALU_DEP_1) | instskip(NEXT) | instid1(VALU_DEP_1)
	v_xor_b32_e32 v1, v4, v1
	v_cmp_ne_u32_e32 vcc_lo, 0x7fffffff, v1
	s_waitcnt lgkmcnt(0)
	s_and_b32 s1, s1, 31
	v_cndmask_b32_e32 v1, 0x80000000, v1, vcc_lo
	s_cmp_eq_u32 s1, 0
	v_cmp_lt_i32_e32 vcc_lo, -1, v2
	s_cselect_b32 s2, -1, 0
	s_and_b32 s0, s0, 31
	s_delay_alu instid0(SALU_CYCLE_1) | instskip(SKIP_4) | instid1(VALU_DEP_2)
	s_add_i32 s0, s0, s1
	s_sub_i32 s1, 32, s1
	s_sub_i32 s0, 32, s0
	v_cndmask_b32_e64 v4, -1, 0x80000000, vcc_lo
	v_lshlrev_b32_e32 v1, s0, v1
	v_xor_b32_e32 v2, v4, v2
	s_delay_alu instid0(VALU_DEP_2) | instskip(NEXT) | instid1(VALU_DEP_2)
	v_lshrrev_b32_e32 v1, s1, v1
	v_cmp_ne_u32_e32 vcc_lo, 0x7fffffff, v2
	s_delay_alu instid0(VALU_DEP_2) | instskip(NEXT) | instid1(VALU_DEP_1)
	v_cndmask_b32_e64 v1, v1, 0, s2
	v_dual_cndmask_b32 v2, 0x80000000, v2 :: v_dual_lshlrev_b32 v5, 9, v1
	v_lshrrev_b32_e32 v1, 3, v1
	s_delay_alu instid0(VALU_DEP_2) | instskip(NEXT) | instid1(VALU_DEP_3)
	v_and_or_b32 v4, 0xe00, v5, v0
	v_lshlrev_b32_e32 v5, s0, v2
	s_delay_alu instid0(VALU_DEP_2) | instskip(NEXT) | instid1(VALU_DEP_1)
	v_lshlrev_b32_e32 v4, 1, v4
	v_add_lshl_u32 v2, v4, v1, 1
	s_delay_alu instid0(VALU_DEP_3) | instskip(SKIP_2) | instid1(VALU_DEP_1)
	v_lshrrev_b32_e32 v4, s1, v5
	ds_load_u16 v1, v2
	v_cndmask_b32_e64 v4, v4, 0, s2
	v_lshlrev_b32_e32 v5, 9, v4
	v_lshrrev_b32_e32 v4, 3, v4
	s_delay_alu instid0(VALU_DEP_2) | instskip(NEXT) | instid1(VALU_DEP_1)
	v_and_or_b32 v5, 0xe00, v5, v0
	v_lshlrev_b32_e32 v5, 1, v5
	s_waitcnt lgkmcnt(0)
	v_add_nc_u16 v6, v1, 1
	s_delay_alu instid0(VALU_DEP_2)
	v_add_lshl_u32 v4, v5, v4, 1
	ds_store_b16 v2, v6
	ds_load_u16 v5, v4
	v_lshlrev_b32_e32 v6, 5, v0
	s_waitcnt lgkmcnt(0)
	v_add_nc_u16 v7, v5, 1
	ds_store_b16 v4, v7
	s_waitcnt lgkmcnt(0)
	s_barrier
	buffer_gl0_inv
	ds_load_2addr_b32 v[7:8], v6 offset1:1
	ds_load_2addr_b32 v[9:10], v6 offset0:2 offset1:3
	ds_load_2addr_b32 v[11:12], v6 offset0:4 offset1:5
	;; [unrolled: 1-line block ×3, first 2 shown]
	s_waitcnt lgkmcnt(3)
	v_add_nc_u32_e32 v7, v8, v7
	s_waitcnt lgkmcnt(2)
	s_delay_alu instid0(VALU_DEP_1) | instskip(SKIP_1) | instid1(VALU_DEP_1)
	v_add3_u32 v7, v7, v9, v10
	s_waitcnt lgkmcnt(1)
	v_add3_u32 v8, v7, v11, v12
	v_mbcnt_lo_u32_b32 v7, -1, 0
	v_or_b32_e32 v11, 31, v0
	s_waitcnt lgkmcnt(0)
	s_delay_alu instid0(VALU_DEP_3) | instskip(NEXT) | instid1(VALU_DEP_3)
	v_add3_u32 v8, v8, v13, v14
	v_and_b32_e32 v9, 15, v7
	s_delay_alu instid0(VALU_DEP_2) | instskip(NEXT) | instid1(VALU_DEP_2)
	v_mov_b32_dpp v10, v8 row_shr:1 row_mask:0xf bank_mask:0xf
	v_cmp_eq_u32_e32 vcc_lo, 0, v9
	v_cmp_lt_u32_e64 s0, 1, v9
	v_cmp_lt_u32_e64 s1, 3, v9
	;; [unrolled: 1-line block ×3, first 2 shown]
	v_cndmask_b32_e64 v10, v10, 0, vcc_lo
	s_delay_alu instid0(VALU_DEP_1) | instskip(NEXT) | instid1(VALU_DEP_1)
	v_add_nc_u32_e32 v8, v10, v8
	v_mov_b32_dpp v10, v8 row_shr:2 row_mask:0xf bank_mask:0xf
	s_delay_alu instid0(VALU_DEP_1) | instskip(NEXT) | instid1(VALU_DEP_1)
	v_cndmask_b32_e64 v10, 0, v10, s0
	v_add_nc_u32_e32 v8, v8, v10
	s_delay_alu instid0(VALU_DEP_1) | instskip(NEXT) | instid1(VALU_DEP_1)
	v_mov_b32_dpp v10, v8 row_shr:4 row_mask:0xf bank_mask:0xf
	v_cndmask_b32_e64 v10, 0, v10, s1
	s_delay_alu instid0(VALU_DEP_1) | instskip(NEXT) | instid1(VALU_DEP_1)
	v_add_nc_u32_e32 v8, v8, v10
	v_mov_b32_dpp v10, v8 row_shr:8 row_mask:0xf bank_mask:0xf
	s_delay_alu instid0(VALU_DEP_1) | instskip(SKIP_1) | instid1(VALU_DEP_2)
	v_cndmask_b32_e64 v9, 0, v10, s2
	v_bfe_i32 v10, v7, 4, 1
	v_add_nc_u32_e32 v8, v8, v9
	ds_swizzle_b32 v9, v8 offset:swizzle(BROADCAST,32,15)
	s_waitcnt lgkmcnt(0)
	v_and_b32_e32 v9, v10, v9
	v_lshrrev_b32_e32 v10, 5, v0
	s_delay_alu instid0(VALU_DEP_2) | instskip(NEXT) | instid1(VALU_DEP_2)
	v_add_nc_u32_e32 v8, v8, v9
	v_lshlrev_b32_e32 v9, 2, v10
	v_cmpx_eq_u32_e64 v11, v0
	s_cbranch_execz .LBB11_4
; %bb.3:
	ds_store_b32 v9, v8 offset:16384
.LBB11_4:
	s_or_b32 exec_lo, exec_lo, s4
	s_delay_alu instid0(SALU_CYCLE_1)
	s_mov_b32 s4, exec_lo
	s_waitcnt lgkmcnt(0)
	s_barrier
	buffer_gl0_inv
	v_cmpx_gt_u32_e32 16, v0
	s_cbranch_execz .LBB11_6
; %bb.5:
	v_lshlrev_b32_e32 v10, 2, v0
	ds_load_b32 v11, v10 offset:16384
	s_waitcnt lgkmcnt(0)
	v_mov_b32_dpp v12, v11 row_shr:1 row_mask:0xf bank_mask:0xf
	s_delay_alu instid0(VALU_DEP_1) | instskip(NEXT) | instid1(VALU_DEP_1)
	v_cndmask_b32_e64 v12, v12, 0, vcc_lo
	v_add_nc_u32_e32 v11, v12, v11
	s_delay_alu instid0(VALU_DEP_1) | instskip(NEXT) | instid1(VALU_DEP_1)
	v_mov_b32_dpp v12, v11 row_shr:2 row_mask:0xf bank_mask:0xf
	v_cndmask_b32_e64 v12, 0, v12, s0
	s_delay_alu instid0(VALU_DEP_1) | instskip(NEXT) | instid1(VALU_DEP_1)
	v_add_nc_u32_e32 v11, v11, v12
	v_mov_b32_dpp v12, v11 row_shr:4 row_mask:0xf bank_mask:0xf
	s_delay_alu instid0(VALU_DEP_1) | instskip(NEXT) | instid1(VALU_DEP_1)
	v_cndmask_b32_e64 v12, 0, v12, s1
	v_add_nc_u32_e32 v11, v11, v12
	s_delay_alu instid0(VALU_DEP_1) | instskip(NEXT) | instid1(VALU_DEP_1)
	v_mov_b32_dpp v12, v11 row_shr:8 row_mask:0xf bank_mask:0xf
	v_cndmask_b32_e64 v12, 0, v12, s2
	s_delay_alu instid0(VALU_DEP_1)
	v_add_nc_u32_e32 v11, v11, v12
	ds_store_b32 v10, v11 offset:16384
.LBB11_6:
	s_or_b32 exec_lo, exec_lo, s4
	v_cmp_lt_u32_e32 vcc_lo, 31, v0
	v_mov_b32_e32 v10, 0
	v_mov_b32_e32 v0, 0
	s_waitcnt lgkmcnt(0)
	s_barrier
	buffer_gl0_inv
	s_and_saveexec_b32 s0, vcc_lo
	s_cbranch_execz .LBB11_8
; %bb.7:
	ds_load_b32 v0, v9 offset:16380
.LBB11_8:
	s_or_b32 exec_lo, exec_lo, s0
	v_add_nc_u32_e32 v9, -1, v7
	v_and_b32_e32 v1, 0xffff, v1
	s_add_u32 s0, s6, s8
	s_addc_u32 s1, s7, s9
	s_waitcnt lgkmcnt(0)
	v_add_nc_u32_e32 v8, v0, v8
	v_cmp_gt_i32_e32 vcc_lo, 0, v9
	v_cndmask_b32_e32 v9, v9, v7, vcc_lo
	v_cmp_eq_u32_e32 vcc_lo, 0, v7
	s_delay_alu instid0(VALU_DEP_2)
	v_lshlrev_b32_e32 v9, 2, v9
	ds_bpermute_b32 v11, v9, v8
	ds_load_b32 v12, v10 offset:16444
	ds_load_2addr_b32 v[8:9], v6 offset1:1
	s_waitcnt lgkmcnt(2)
	v_cndmask_b32_e32 v0, v11, v0, vcc_lo
	ds_load_2addr_b32 v[10:11], v6 offset0:2 offset1:3
	s_waitcnt lgkmcnt(2)
	v_lshl_add_u32 v0, v12, 16, v0
	ds_load_2addr_b32 v[12:13], v6 offset0:4 offset1:5
	ds_load_b32 v7, v6 offset:24
	s_waitcnt lgkmcnt(3)
	v_add_nc_u32_e32 v8, v0, v8
	s_delay_alu instid0(VALU_DEP_1) | instskip(SKIP_1) | instid1(VALU_DEP_1)
	v_add_nc_u32_e32 v9, v9, v8
	s_waitcnt lgkmcnt(2)
	v_add_nc_u32_e32 v10, v10, v9
	s_delay_alu instid0(VALU_DEP_1) | instskip(SKIP_1) | instid1(VALU_DEP_1)
	v_add_nc_u32_e32 v11, v11, v10
	;; [unrolled: 4-line block ×3, first 2 shown]
	s_waitcnt lgkmcnt(0)
	v_add_nc_u32_e32 v7, v7, v13
	ds_store_2addr_b32 v6, v0, v8 offset1:1
	ds_store_2addr_b32 v6, v9, v10 offset0:2 offset1:3
	ds_store_2addr_b32 v6, v11, v12 offset0:4 offset1:5
	;; [unrolled: 1-line block ×3, first 2 shown]
	s_waitcnt lgkmcnt(0)
	s_barrier
	buffer_gl0_inv
	ds_load_u16 v0, v2
	ds_load_u16 v2, v4
	v_and_b32_e32 v4, 0xffff, v5
	s_waitcnt lgkmcnt(1)
	v_add_nc_u32_e32 v0, v0, v1
	s_waitcnt lgkmcnt(0)
	s_delay_alu instid0(VALU_DEP_2)
	v_add_nc_u32_e32 v1, v2, v4
	v_lshlrev_b32_e32 v2, 2, v3
	global_store_b64 v2, v[0:1], s[0:1]
	s_nop 0
	s_sendmsg sendmsg(MSG_DEALLOC_VGPRS)
	s_endpgm
	.section	.rodata,"a",@progbits
	.p2align	6, 0x0
	.amdhsa_kernel _Z11rank_kernelILj512ELj2ELj4ELb0EL18RadixRankAlgorithm0EfEvPKT4_Pijj
		.amdhsa_group_segment_fixed_size 16448
		.amdhsa_private_segment_fixed_size 0
		.amdhsa_kernarg_size 24
		.amdhsa_user_sgpr_count 15
		.amdhsa_user_sgpr_dispatch_ptr 0
		.amdhsa_user_sgpr_queue_ptr 0
		.amdhsa_user_sgpr_kernarg_segment_ptr 1
		.amdhsa_user_sgpr_dispatch_id 0
		.amdhsa_user_sgpr_private_segment_size 0
		.amdhsa_wavefront_size32 1
		.amdhsa_uses_dynamic_stack 0
		.amdhsa_enable_private_segment 0
		.amdhsa_system_sgpr_workgroup_id_x 1
		.amdhsa_system_sgpr_workgroup_id_y 0
		.amdhsa_system_sgpr_workgroup_id_z 0
		.amdhsa_system_sgpr_workgroup_info 0
		.amdhsa_system_vgpr_workitem_id 0
		.amdhsa_next_free_vgpr 15
		.amdhsa_next_free_sgpr 16
		.amdhsa_reserve_vcc 1
		.amdhsa_float_round_mode_32 0
		.amdhsa_float_round_mode_16_64 0
		.amdhsa_float_denorm_mode_32 3
		.amdhsa_float_denorm_mode_16_64 3
		.amdhsa_dx10_clamp 1
		.amdhsa_ieee_mode 1
		.amdhsa_fp16_overflow 0
		.amdhsa_workgroup_processor_mode 1
		.amdhsa_memory_ordered 1
		.amdhsa_forward_progress 0
		.amdhsa_shared_vgpr_count 0
		.amdhsa_exception_fp_ieee_invalid_op 0
		.amdhsa_exception_fp_denorm_src 0
		.amdhsa_exception_fp_ieee_div_zero 0
		.amdhsa_exception_fp_ieee_overflow 0
		.amdhsa_exception_fp_ieee_underflow 0
		.amdhsa_exception_fp_ieee_inexact 0
		.amdhsa_exception_int_div_zero 0
	.end_amdhsa_kernel
	.section	.text._Z11rank_kernelILj512ELj2ELj4ELb0EL18RadixRankAlgorithm0EfEvPKT4_Pijj,"axG",@progbits,_Z11rank_kernelILj512ELj2ELj4ELb0EL18RadixRankAlgorithm0EfEvPKT4_Pijj,comdat
.Lfunc_end11:
	.size	_Z11rank_kernelILj512ELj2ELj4ELb0EL18RadixRankAlgorithm0EfEvPKT4_Pijj, .Lfunc_end11-_Z11rank_kernelILj512ELj2ELj4ELb0EL18RadixRankAlgorithm0EfEvPKT4_Pijj
                                        ; -- End function
	.section	.AMDGPU.csdata,"",@progbits
; Kernel info:
; codeLenInByte = 1240
; NumSgprs: 18
; NumVgprs: 15
; ScratchSize: 0
; MemoryBound: 0
; FloatMode: 240
; IeeeMode: 1
; LDSByteSize: 16448 bytes/workgroup (compile time only)
; SGPRBlocks: 2
; VGPRBlocks: 1
; NumSGPRsForWavesPerEU: 18
; NumVGPRsForWavesPerEU: 15
; Occupancy: 16
; WaveLimiterHint : 0
; COMPUTE_PGM_RSRC2:SCRATCH_EN: 0
; COMPUTE_PGM_RSRC2:USER_SGPR: 15
; COMPUTE_PGM_RSRC2:TRAP_HANDLER: 0
; COMPUTE_PGM_RSRC2:TGID_X_EN: 1
; COMPUTE_PGM_RSRC2:TGID_Y_EN: 0
; COMPUTE_PGM_RSRC2:TGID_Z_EN: 0
; COMPUTE_PGM_RSRC2:TIDIG_COMP_CNT: 0
	.section	.text._Z11rank_kernelILj256ELj7ELj4ELb0EL18RadixRankAlgorithm0EtEvPKT4_Pijj,"axG",@progbits,_Z11rank_kernelILj256ELj7ELj4ELb0EL18RadixRankAlgorithm0EtEvPKT4_Pijj,comdat
	.protected	_Z11rank_kernelILj256ELj7ELj4ELb0EL18RadixRankAlgorithm0EtEvPKT4_Pijj ; -- Begin function _Z11rank_kernelILj256ELj7ELj4ELb0EL18RadixRankAlgorithm0EtEvPKT4_Pijj
	.globl	_Z11rank_kernelILj256ELj7ELj4ELb0EL18RadixRankAlgorithm0EtEvPKT4_Pijj
	.p2align	8
	.type	_Z11rank_kernelILj256ELj7ELj4ELb0EL18RadixRankAlgorithm0EtEvPKT4_Pijj,@function
_Z11rank_kernelILj256ELj7ELj4ELb0EL18RadixRankAlgorithm0EtEvPKT4_Pijj: ; @_Z11rank_kernelILj256ELj7ELj4ELb0EL18RadixRankAlgorithm0EtEvPKT4_Pijj
; %bb.0:
	s_load_b128 s[4:7], s[0:1], 0x0
	v_mul_u32_u24_e32 v4, 7, v0
	s_mov_b32 s3, 0
	s_mul_i32 s2, s15, 0x700
	v_dual_mov_b32 v5, 0 :: v_dual_lshlrev_b32 v6, 2, v0
	s_lshl_b64 s[8:9], s[2:3], 1
	v_lshlrev_b32_e32 v1, 1, v4
	v_or_b32_e32 v7, 0xffffff00, v0
	s_waitcnt lgkmcnt(0)
	s_add_u32 s4, s4, s8
	s_addc_u32 s5, s5, s9
	s_clause 0x1
	global_load_d16_b16 v12, v1, s[4:5] offset:12
	global_load_b96 v[1:3], v1, s[4:5]
	s_mov_b32 s4, s3
.LBB12_1:                               ; =>This Inner Loop Header: Depth=1
	v_add_nc_u32_e32 v7, 0x100, v7
	ds_store_b32 v6, v5
	v_add_nc_u32_e32 v6, 0x400, v6
	v_cmp_lt_u32_e32 vcc_lo, 0x6ff, v7
	s_or_b32 s4, vcc_lo, s4
	s_delay_alu instid0(SALU_CYCLE_1)
	s_and_not1_b32 exec_lo, exec_lo, s4
	s_cbranch_execnz .LBB12_1
; %bb.2:
	s_or_b32 exec_lo, exec_lo, s4
	s_load_b64 s[0:1], s[0:1], 0x10
	s_waitcnt vmcnt(0)
	v_and_b32_e32 v5, 0xffff, v1
	v_lshrrev_b32_e32 v1, 16, v1
	v_and_b32_e32 v8, 0xffff, v2
	v_lshrrev_b32_e32 v2, 16, v2
	;; [unrolled: 2-line block ×3, first 2 shown]
	v_and_b32_e32 v12, 0xffff, v12
	s_waitcnt lgkmcnt(0)
	s_and_b32 s1, s1, 31
	s_delay_alu instid0(SALU_CYCLE_1) | instskip(SKIP_2) | instid1(SALU_CYCLE_1)
	s_cmp_eq_u32 s1, 0
	s_cselect_b32 s4, -1, 0
	s_and_b32 s0, s0, 31
	s_add_i32 s0, s0, s1
	s_sub_i32 s1, 32, s1
	s_sub_i32 s0, 32, s0
	s_delay_alu instid0(SALU_CYCLE_1)
	v_lshlrev_b32_e32 v5, s0, v5
	v_lshlrev_b32_e32 v1, s0, v1
	;; [unrolled: 1-line block ×5, first 2 shown]
	v_bfe_u32 v5, v5, s1, 16
	v_lshlrev_b32_e32 v3, s0, v3
	v_bfe_u32 v8, v8, s1, 16
	v_lshlrev_b32_e32 v12, s0, v12
	v_bfe_u32 v11, v11, s1, 16
	v_cndmask_b32_e64 v5, v5, 0, s4
	s_mov_b32 s0, exec_lo
	v_cndmask_b32_e64 v8, v8, 0, s4
	s_delay_alu instid0(VALU_DEP_3) | instskip(NEXT) | instid1(VALU_DEP_3)
	v_cndmask_b32_e64 v11, v11, 0, s4
	v_lshlrev_b32_e32 v6, 8, v5
	v_lshrrev_b32_e32 v5, 3, v5
	s_delay_alu instid0(VALU_DEP_2) | instskip(NEXT) | instid1(VALU_DEP_1)
	v_and_or_b32 v6, 0x700, v6, v0
	v_lshlrev_b32_e32 v6, 1, v6
	s_delay_alu instid0(VALU_DEP_1) | instskip(SKIP_3) | instid1(VALU_DEP_1)
	v_add_lshl_u32 v5, v6, v5, 1
	v_bfe_u32 v6, v1, s1, 16
	ds_load_u16 v1, v5
	v_cndmask_b32_e64 v6, v6, 0, s4
	v_lshlrev_b32_e32 v7, 8, v6
	v_lshrrev_b32_e32 v6, 3, v6
	s_delay_alu instid0(VALU_DEP_2) | instskip(NEXT) | instid1(VALU_DEP_1)
	v_and_or_b32 v7, 0x700, v7, v0
	v_lshlrev_b32_e32 v7, 1, v7
	s_waitcnt lgkmcnt(0)
	v_add_nc_u16 v9, v1, 1
	s_delay_alu instid0(VALU_DEP_2) | instskip(SKIP_4) | instid1(VALU_DEP_2)
	v_add_lshl_u32 v7, v7, v6, 1
	ds_store_b16 v5, v9
	ds_load_u16 v6, v7
	v_lshlrev_b32_e32 v9, 8, v8
	v_lshrrev_b32_e32 v8, 3, v8
	v_and_or_b32 v9, 0x700, v9, v0
	s_delay_alu instid0(VALU_DEP_1) | instskip(NEXT) | instid1(VALU_DEP_1)
	v_lshlrev_b32_e32 v9, 1, v9
	v_add_lshl_u32 v8, v9, v8, 1
	v_bfe_u32 v9, v2, s1, 16
	s_waitcnt lgkmcnt(0)
	v_add_nc_u16 v10, v6, 1
	s_delay_alu instid0(VALU_DEP_2) | instskip(SKIP_4) | instid1(VALU_DEP_2)
	v_cndmask_b32_e64 v9, v9, 0, s4
	ds_store_b16 v7, v10
	ds_load_u16 v2, v8
	v_lshlrev_b32_e32 v10, 8, v9
	v_lshrrev_b32_e32 v9, 3, v9
	v_and_or_b32 v10, 0x700, v10, v0
	s_delay_alu instid0(VALU_DEP_1) | instskip(NEXT) | instid1(VALU_DEP_1)
	v_lshlrev_b32_e32 v10, 1, v10
	v_add_lshl_u32 v10, v10, v9, 1
	s_waitcnt lgkmcnt(0)
	v_add_nc_u16 v13, v2, 1
	ds_store_b16 v8, v13
	ds_load_u16 v9, v10
	v_lshlrev_b32_e32 v13, 8, v11
	v_lshrrev_b32_e32 v11, 3, v11
	s_delay_alu instid0(VALU_DEP_2) | instskip(NEXT) | instid1(VALU_DEP_1)
	v_and_or_b32 v13, 0x700, v13, v0
	v_lshlrev_b32_e32 v13, 1, v13
	s_delay_alu instid0(VALU_DEP_1) | instskip(SKIP_3) | instid1(VALU_DEP_2)
	v_add_lshl_u32 v11, v13, v11, 1
	v_bfe_u32 v13, v3, s1, 16
	s_waitcnt lgkmcnt(0)
	v_add_nc_u16 v14, v9, 1
	v_cndmask_b32_e64 v13, v13, 0, s4
	ds_store_b16 v10, v14
	ds_load_u16 v3, v11
	v_lshlrev_b32_e32 v14, 8, v13
	v_lshrrev_b32_e32 v13, 3, v13
	s_delay_alu instid0(VALU_DEP_2) | instskip(NEXT) | instid1(VALU_DEP_1)
	v_and_or_b32 v14, 0x700, v14, v0
	v_lshlrev_b32_e32 v14, 1, v14
	s_delay_alu instid0(VALU_DEP_1) | instskip(SKIP_3) | instid1(VALU_DEP_2)
	v_add_lshl_u32 v13, v14, v13, 1
	v_bfe_u32 v14, v12, s1, 16
	s_waitcnt lgkmcnt(0)
	v_add_nc_u16 v15, v3, 1
	v_cndmask_b32_e64 v14, v14, 0, s4
	ds_store_b16 v11, v15
	ds_load_u16 v12, v13
	v_lshlrev_b32_e32 v15, 8, v14
	v_lshrrev_b32_e32 v14, 3, v14
	s_delay_alu instid0(VALU_DEP_2) | instskip(NEXT) | instid1(VALU_DEP_1)
	v_and_or_b32 v15, 0x700, v15, v0
	v_lshlrev_b32_e32 v15, 1, v15
	s_delay_alu instid0(VALU_DEP_1)
	v_add_lshl_u32 v15, v15, v14, 1
	s_waitcnt lgkmcnt(0)
	v_add_nc_u16 v16, v12, 1
	ds_store_b16 v13, v16
	ds_load_u16 v14, v15
	v_lshlrev_b32_e32 v16, 5, v0
	s_waitcnt lgkmcnt(0)
	v_add_nc_u16 v17, v14, 1
	ds_store_b16 v15, v17
	s_waitcnt lgkmcnt(0)
	s_barrier
	buffer_gl0_inv
	ds_load_2addr_b32 v[17:18], v16 offset1:1
	ds_load_2addr_b32 v[19:20], v16 offset0:2 offset1:3
	ds_load_2addr_b32 v[21:22], v16 offset0:4 offset1:5
	;; [unrolled: 1-line block ×3, first 2 shown]
	s_waitcnt lgkmcnt(3)
	v_add_nc_u32_e32 v17, v18, v17
	s_waitcnt lgkmcnt(2)
	s_delay_alu instid0(VALU_DEP_1) | instskip(SKIP_1) | instid1(VALU_DEP_1)
	v_add3_u32 v17, v17, v19, v20
	s_waitcnt lgkmcnt(1)
	v_add3_u32 v18, v17, v21, v22
	v_mbcnt_lo_u32_b32 v17, -1, 0
	v_or_b32_e32 v21, 31, v0
	s_waitcnt lgkmcnt(0)
	s_delay_alu instid0(VALU_DEP_3) | instskip(NEXT) | instid1(VALU_DEP_3)
	v_add3_u32 v18, v18, v23, v24
	v_and_b32_e32 v19, 15, v17
	s_delay_alu instid0(VALU_DEP_2) | instskip(NEXT) | instid1(VALU_DEP_2)
	v_mov_b32_dpp v20, v18 row_shr:1 row_mask:0xf bank_mask:0xf
	v_cmp_ne_u32_e32 vcc_lo, 0, v19
	s_delay_alu instid0(VALU_DEP_2) | instskip(SKIP_1) | instid1(VALU_DEP_2)
	v_cndmask_b32_e32 v20, 0, v20, vcc_lo
	v_cmp_lt_u32_e32 vcc_lo, 1, v19
	v_add_nc_u32_e32 v18, v20, v18
	s_delay_alu instid0(VALU_DEP_1) | instskip(NEXT) | instid1(VALU_DEP_1)
	v_mov_b32_dpp v20, v18 row_shr:2 row_mask:0xf bank_mask:0xf
	v_cndmask_b32_e32 v20, 0, v20, vcc_lo
	v_cmp_lt_u32_e32 vcc_lo, 3, v19
	s_delay_alu instid0(VALU_DEP_2) | instskip(NEXT) | instid1(VALU_DEP_1)
	v_add_nc_u32_e32 v18, v18, v20
	v_mov_b32_dpp v20, v18 row_shr:4 row_mask:0xf bank_mask:0xf
	s_delay_alu instid0(VALU_DEP_1) | instskip(SKIP_1) | instid1(VALU_DEP_2)
	v_cndmask_b32_e32 v20, 0, v20, vcc_lo
	v_cmp_lt_u32_e32 vcc_lo, 7, v19
	v_add_nc_u32_e32 v18, v18, v20
	s_delay_alu instid0(VALU_DEP_1) | instskip(NEXT) | instid1(VALU_DEP_1)
	v_mov_b32_dpp v20, v18 row_shr:8 row_mask:0xf bank_mask:0xf
	v_cndmask_b32_e32 v19, 0, v20, vcc_lo
	v_bfe_i32 v20, v17, 4, 1
	s_delay_alu instid0(VALU_DEP_2) | instskip(SKIP_4) | instid1(VALU_DEP_2)
	v_add_nc_u32_e32 v18, v18, v19
	ds_swizzle_b32 v19, v18 offset:swizzle(BROADCAST,32,15)
	s_waitcnt lgkmcnt(0)
	v_and_b32_e32 v19, v20, v19
	v_lshrrev_b32_e32 v20, 5, v0
	v_add_nc_u32_e32 v18, v18, v19
	s_delay_alu instid0(VALU_DEP_2)
	v_lshlrev_b32_e32 v19, 2, v20
	v_cmpx_eq_u32_e64 v21, v0
	s_cbranch_execz .LBB12_4
; %bb.3:
	ds_store_b32 v19, v18 offset:8192
.LBB12_4:
	s_or_b32 exec_lo, exec_lo, s0
	s_delay_alu instid0(SALU_CYCLE_1)
	s_mov_b32 s0, exec_lo
	s_waitcnt lgkmcnt(0)
	s_barrier
	buffer_gl0_inv
	v_cmpx_gt_u32_e32 8, v0
	s_cbranch_execz .LBB12_6
; %bb.5:
	v_and_b32_e32 v22, 7, v17
	s_delay_alu instid0(VALU_DEP_1) | instskip(SKIP_4) | instid1(VALU_DEP_1)
	v_cmp_ne_u32_e32 vcc_lo, 0, v22
	v_lshlrev_b32_e32 v20, 2, v0
	ds_load_b32 v21, v20 offset:8192
	s_waitcnt lgkmcnt(0)
	v_mov_b32_dpp v23, v21 row_shr:1 row_mask:0xf bank_mask:0xf
	v_cndmask_b32_e32 v23, 0, v23, vcc_lo
	v_cmp_lt_u32_e32 vcc_lo, 1, v22
	s_delay_alu instid0(VALU_DEP_2) | instskip(NEXT) | instid1(VALU_DEP_1)
	v_add_nc_u32_e32 v21, v23, v21
	v_mov_b32_dpp v23, v21 row_shr:2 row_mask:0xf bank_mask:0xf
	s_delay_alu instid0(VALU_DEP_1) | instskip(SKIP_1) | instid1(VALU_DEP_2)
	v_cndmask_b32_e32 v23, 0, v23, vcc_lo
	v_cmp_lt_u32_e32 vcc_lo, 3, v22
	v_add_nc_u32_e32 v21, v21, v23
	s_delay_alu instid0(VALU_DEP_1) | instskip(NEXT) | instid1(VALU_DEP_1)
	v_mov_b32_dpp v23, v21 row_shr:4 row_mask:0xf bank_mask:0xf
	v_cndmask_b32_e32 v22, 0, v23, vcc_lo
	s_delay_alu instid0(VALU_DEP_1)
	v_add_nc_u32_e32 v21, v21, v22
	ds_store_b32 v20, v21 offset:8192
.LBB12_6:
	s_or_b32 exec_lo, exec_lo, s0
	v_cmp_lt_u32_e32 vcc_lo, 31, v0
	v_mov_b32_e32 v20, 0
	v_mov_b32_e32 v0, 0
	s_waitcnt lgkmcnt(0)
	s_barrier
	buffer_gl0_inv
	s_and_saveexec_b32 s0, vcc_lo
	s_cbranch_execz .LBB12_8
; %bb.7:
	ds_load_b32 v0, v19 offset:8188
.LBB12_8:
	s_or_b32 exec_lo, exec_lo, s0
	v_add_nc_u32_e32 v19, -1, v17
	v_and_b32_e32 v1, 0xffff, v1
	v_and_b32_e32 v6, 0xffff, v6
	;; [unrolled: 1-line block ×4, first 2 shown]
	v_cmp_gt_i32_e32 vcc_lo, 0, v19
	v_and_b32_e32 v12, 0xffff, v12
	v_and_b32_e32 v14, 0xffff, v14
	s_lshl_b64 s[0:1], s[2:3], 2
	s_waitcnt lgkmcnt(0)
	v_dual_cndmask_b32 v19, v19, v17 :: v_dual_add_nc_u32 v18, v0, v18
	v_cmp_eq_u32_e32 vcc_lo, 0, v17
	s_add_u32 s0, s6, s0
	s_addc_u32 s1, s7, s1
	s_delay_alu instid0(VALU_DEP_2)
	v_lshlrev_b32_e32 v19, 2, v19
	ds_bpermute_b32 v21, v19, v18
	ds_load_b32 v22, v20 offset:8220
	ds_load_2addr_b32 v[18:19], v16 offset1:1
	s_waitcnt lgkmcnt(2)
	v_cndmask_b32_e32 v0, v21, v0, vcc_lo
	ds_load_2addr_b32 v[20:21], v16 offset0:2 offset1:3
	s_waitcnt lgkmcnt(2)
	v_lshl_add_u32 v0, v22, 16, v0
	ds_load_2addr_b32 v[22:23], v16 offset0:4 offset1:5
	ds_load_b32 v17, v16 offset:24
	s_waitcnt lgkmcnt(3)
	v_add_nc_u32_e32 v18, v0, v18
	s_delay_alu instid0(VALU_DEP_1) | instskip(SKIP_1) | instid1(VALU_DEP_1)
	v_add_nc_u32_e32 v19, v19, v18
	s_waitcnt lgkmcnt(2)
	v_add_nc_u32_e32 v20, v20, v19
	s_delay_alu instid0(VALU_DEP_1) | instskip(SKIP_1) | instid1(VALU_DEP_1)
	v_add_nc_u32_e32 v21, v21, v20
	s_waitcnt lgkmcnt(1)
	v_add_nc_u32_e32 v22, v22, v21
	s_delay_alu instid0(VALU_DEP_1) | instskip(SKIP_1) | instid1(VALU_DEP_1)
	v_add_nc_u32_e32 v23, v23, v22
	s_waitcnt lgkmcnt(0)
	v_add_nc_u32_e32 v17, v17, v23
	ds_store_2addr_b32 v16, v0, v18 offset1:1
	ds_store_2addr_b32 v16, v19, v20 offset0:2 offset1:3
	ds_store_2addr_b32 v16, v21, v22 offset0:4 offset1:5
	;; [unrolled: 1-line block ×3, first 2 shown]
	s_waitcnt lgkmcnt(0)
	s_barrier
	buffer_gl0_inv
	ds_load_u16 v0, v5
	ds_load_u16 v5, v7
	;; [unrolled: 1-line block ×7, first 2 shown]
	v_and_b32_e32 v15, 0xffff, v3
	v_lshlrev_b32_e32 v16, 2, v4
	s_waitcnt lgkmcnt(6)
	v_add_nc_u32_e32 v0, v0, v1
	s_waitcnt lgkmcnt(5)
	v_add_nc_u32_e32 v1, v5, v6
	;; [unrolled: 2-line block ×7, first 2 shown]
	s_clause 0x1
	global_store_b128 v16, v[0:3], s[0:1]
	global_store_b96 v16, v[4:6], s[0:1] offset:16
	s_nop 0
	s_sendmsg sendmsg(MSG_DEALLOC_VGPRS)
	s_endpgm
	.section	.rodata,"a",@progbits
	.p2align	6, 0x0
	.amdhsa_kernel _Z11rank_kernelILj256ELj7ELj4ELb0EL18RadixRankAlgorithm0EtEvPKT4_Pijj
		.amdhsa_group_segment_fixed_size 8224
		.amdhsa_private_segment_fixed_size 0
		.amdhsa_kernarg_size 24
		.amdhsa_user_sgpr_count 15
		.amdhsa_user_sgpr_dispatch_ptr 0
		.amdhsa_user_sgpr_queue_ptr 0
		.amdhsa_user_sgpr_kernarg_segment_ptr 1
		.amdhsa_user_sgpr_dispatch_id 0
		.amdhsa_user_sgpr_private_segment_size 0
		.amdhsa_wavefront_size32 1
		.amdhsa_uses_dynamic_stack 0
		.amdhsa_enable_private_segment 0
		.amdhsa_system_sgpr_workgroup_id_x 1
		.amdhsa_system_sgpr_workgroup_id_y 0
		.amdhsa_system_sgpr_workgroup_id_z 0
		.amdhsa_system_sgpr_workgroup_info 0
		.amdhsa_system_vgpr_workitem_id 0
		.amdhsa_next_free_vgpr 25
		.amdhsa_next_free_sgpr 16
		.amdhsa_reserve_vcc 1
		.amdhsa_float_round_mode_32 0
		.amdhsa_float_round_mode_16_64 0
		.amdhsa_float_denorm_mode_32 3
		.amdhsa_float_denorm_mode_16_64 3
		.amdhsa_dx10_clamp 1
		.amdhsa_ieee_mode 1
		.amdhsa_fp16_overflow 0
		.amdhsa_workgroup_processor_mode 1
		.amdhsa_memory_ordered 1
		.amdhsa_forward_progress 0
		.amdhsa_shared_vgpr_count 0
		.amdhsa_exception_fp_ieee_invalid_op 0
		.amdhsa_exception_fp_denorm_src 0
		.amdhsa_exception_fp_ieee_div_zero 0
		.amdhsa_exception_fp_ieee_overflow 0
		.amdhsa_exception_fp_ieee_underflow 0
		.amdhsa_exception_fp_ieee_inexact 0
		.amdhsa_exception_int_div_zero 0
	.end_amdhsa_kernel
	.section	.text._Z11rank_kernelILj256ELj7ELj4ELb0EL18RadixRankAlgorithm0EtEvPKT4_Pijj,"axG",@progbits,_Z11rank_kernelILj256ELj7ELj4ELb0EL18RadixRankAlgorithm0EtEvPKT4_Pijj,comdat
.Lfunc_end12:
	.size	_Z11rank_kernelILj256ELj7ELj4ELb0EL18RadixRankAlgorithm0EtEvPKT4_Pijj, .Lfunc_end12-_Z11rank_kernelILj256ELj7ELj4ELb0EL18RadixRankAlgorithm0EtEvPKT4_Pijj
                                        ; -- End function
	.section	.AMDGPU.csdata,"",@progbits
; Kernel info:
; codeLenInByte = 1756
; NumSgprs: 18
; NumVgprs: 25
; ScratchSize: 0
; MemoryBound: 0
; FloatMode: 240
; IeeeMode: 1
; LDSByteSize: 8224 bytes/workgroup (compile time only)
; SGPRBlocks: 2
; VGPRBlocks: 3
; NumSGPRsForWavesPerEU: 18
; NumVGPRsForWavesPerEU: 25
; Occupancy: 16
; WaveLimiterHint : 0
; COMPUTE_PGM_RSRC2:SCRATCH_EN: 0
; COMPUTE_PGM_RSRC2:USER_SGPR: 15
; COMPUTE_PGM_RSRC2:TRAP_HANDLER: 0
; COMPUTE_PGM_RSRC2:TGID_X_EN: 1
; COMPUTE_PGM_RSRC2:TGID_Y_EN: 0
; COMPUTE_PGM_RSRC2:TGID_Z_EN: 0
; COMPUTE_PGM_RSRC2:TIDIG_COMP_CNT: 0
	.section	.text._Z11rank_kernelILj128ELj4ELj4ELb0EL18RadixRankAlgorithm0EiEvPKT4_Pijj,"axG",@progbits,_Z11rank_kernelILj128ELj4ELj4ELb0EL18RadixRankAlgorithm0EiEvPKT4_Pijj,comdat
	.protected	_Z11rank_kernelILj128ELj4ELj4ELb0EL18RadixRankAlgorithm0EiEvPKT4_Pijj ; -- Begin function _Z11rank_kernelILj128ELj4ELj4ELb0EL18RadixRankAlgorithm0EiEvPKT4_Pijj
	.globl	_Z11rank_kernelILj128ELj4ELj4ELb0EL18RadixRankAlgorithm0EiEvPKT4_Pijj
	.p2align	8
	.type	_Z11rank_kernelILj128ELj4ELj4ELb0EL18RadixRankAlgorithm0EiEvPKT4_Pijj,@function
_Z11rank_kernelILj128ELj4ELj4ELb0EL18RadixRankAlgorithm0EiEvPKT4_Pijj: ; @_Z11rank_kernelILj128ELj4ELj4ELb0EL18RadixRankAlgorithm0EiEvPKT4_Pijj
; %bb.0:
	s_load_b128 s[4:7], s[0:1], 0x0
	s_lshl_b32 s8, s15, 9
	s_mov_b32 s9, 0
	v_dual_mov_b32 v6, 0 :: v_dual_lshlrev_b32 v1, 4, v0
	s_lshl_b64 s[2:3], s[8:9], 2
	v_lshlrev_b32_e32 v5, 2, v0
	v_or_b32_e32 v7, 0xffffff80, v0
	s_delay_alu instid0(VALU_DEP_2)
	v_mov_b32_e32 v8, v5
	s_waitcnt lgkmcnt(0)
	s_add_u32 s4, s4, s2
	s_addc_u32 s5, s5, s3
	global_load_b128 v[1:4], v1, s[4:5]
.LBB13_1:                               ; =>This Inner Loop Header: Depth=1
	v_add_nc_u32_e32 v7, 0x80, v7
	ds_store_b32 v8, v6
	v_add_nc_u32_e32 v8, 0x200, v8
	v_cmp_lt_u32_e32 vcc_lo, 0x37f, v7
	s_or_b32 s9, vcc_lo, s9
	s_delay_alu instid0(SALU_CYCLE_1)
	s_and_not1_b32 exec_lo, exec_lo, s9
	s_cbranch_execnz .LBB13_1
; %bb.2:
	s_or_b32 exec_lo, exec_lo, s9
	s_load_b64 s[0:1], s[0:1], 0x10
	s_waitcnt vmcnt(0)
	v_xor_b32_e32 v1, 0x80000000, v1
	v_xor_b32_e32 v2, 0x80000000, v2
	;; [unrolled: 1-line block ×4, first 2 shown]
	s_waitcnt lgkmcnt(0)
	s_and_b32 s1, s1, 31
	s_delay_alu instid0(SALU_CYCLE_1) | instskip(SKIP_2) | instid1(SALU_CYCLE_1)
	s_cmp_eq_u32 s1, 0
	s_cselect_b32 s4, -1, 0
	s_and_b32 s0, s0, 31
	s_add_i32 s0, s0, s1
	s_sub_i32 s1, 32, s1
	s_sub_i32 s0, 32, s0
	s_delay_alu instid0(SALU_CYCLE_1)
	v_lshlrev_b32_e32 v1, s0, v1
	v_lshlrev_b32_e32 v7, s0, v2
	;; [unrolled: 1-line block ×4, first 2 shown]
	s_mov_b32 s0, exec_lo
	v_lshrrev_b32_e32 v1, s1, v1
	s_delay_alu instid0(VALU_DEP_1) | instskip(NEXT) | instid1(VALU_DEP_1)
	v_cndmask_b32_e64 v1, v1, 0, s4
	v_lshlrev_b32_e32 v6, 7, v1
	v_lshrrev_b32_e32 v1, 3, v1
	s_delay_alu instid0(VALU_DEP_2) | instskip(NEXT) | instid1(VALU_DEP_1)
	v_and_or_b32 v6, 0x380, v6, v0
	v_lshlrev_b32_e32 v6, 1, v6
	s_delay_alu instid0(VALU_DEP_1) | instskip(SKIP_3) | instid1(VALU_DEP_1)
	v_add_lshl_u32 v2, v6, v1, 1
	v_lshrrev_b32_e32 v6, s1, v7
	ds_load_u16 v1, v2
	v_cndmask_b32_e64 v6, v6, 0, s4
	v_lshlrev_b32_e32 v7, 7, v6
	v_lshrrev_b32_e32 v6, 3, v6
	s_delay_alu instid0(VALU_DEP_2) | instskip(NEXT) | instid1(VALU_DEP_1)
	v_and_or_b32 v7, 0x380, v7, v0
	v_lshlrev_b32_e32 v7, 1, v7
	s_waitcnt lgkmcnt(0)
	v_add_nc_u16 v8, v1, 1
	s_delay_alu instid0(VALU_DEP_2) | instskip(SKIP_4) | instid1(VALU_DEP_1)
	v_add_lshl_u32 v6, v7, v6, 1
	v_lshrrev_b32_e32 v7, s1, v3
	ds_store_b16 v2, v8
	ds_load_u16 v3, v6
	v_cndmask_b32_e64 v7, v7, 0, s4
	v_lshlrev_b32_e32 v8, 7, v7
	v_lshrrev_b32_e32 v7, 3, v7
	s_delay_alu instid0(VALU_DEP_2) | instskip(NEXT) | instid1(VALU_DEP_1)
	v_and_or_b32 v8, 0x380, v8, v0
	v_lshlrev_b32_e32 v8, 1, v8
	s_waitcnt lgkmcnt(0)
	v_add_nc_u16 v9, v3, 1
	s_delay_alu instid0(VALU_DEP_2) | instskip(SKIP_4) | instid1(VALU_DEP_1)
	v_add_lshl_u32 v7, v8, v7, 1
	v_lshrrev_b32_e32 v8, s1, v4
	ds_store_b16 v6, v9
	ds_load_u16 v4, v7
	v_cndmask_b32_e64 v8, v8, 0, s4
	v_lshlrev_b32_e32 v9, 7, v8
	v_lshrrev_b32_e32 v8, 3, v8
	s_delay_alu instid0(VALU_DEP_2) | instskip(NEXT) | instid1(VALU_DEP_1)
	v_and_or_b32 v9, 0x380, v9, v0
	v_lshlrev_b32_e32 v9, 1, v9
	s_waitcnt lgkmcnt(0)
	v_add_nc_u16 v10, v4, 1
	s_delay_alu instid0(VALU_DEP_2)
	v_add_lshl_u32 v9, v9, v8, 1
	ds_store_b16 v7, v10
	ds_load_u16 v8, v9
	v_lshlrev_b32_e32 v10, 5, v0
	s_waitcnt lgkmcnt(0)
	v_add_nc_u16 v11, v8, 1
	ds_store_b16 v9, v11
	s_waitcnt lgkmcnt(0)
	s_barrier
	buffer_gl0_inv
	ds_load_2addr_b32 v[11:12], v10 offset1:1
	ds_load_2addr_b32 v[13:14], v10 offset0:2 offset1:3
	ds_load_2addr_b32 v[15:16], v10 offset0:4 offset1:5
	;; [unrolled: 1-line block ×3, first 2 shown]
	s_waitcnt lgkmcnt(3)
	v_add_nc_u32_e32 v11, v12, v11
	s_waitcnt lgkmcnt(2)
	s_delay_alu instid0(VALU_DEP_1) | instskip(SKIP_1) | instid1(VALU_DEP_1)
	v_add3_u32 v11, v11, v13, v14
	s_waitcnt lgkmcnt(1)
	v_add3_u32 v12, v11, v15, v16
	v_mbcnt_lo_u32_b32 v11, -1, 0
	v_or_b32_e32 v15, 31, v0
	s_waitcnt lgkmcnt(0)
	s_delay_alu instid0(VALU_DEP_3) | instskip(NEXT) | instid1(VALU_DEP_3)
	v_add3_u32 v12, v12, v17, v18
	v_and_b32_e32 v13, 15, v11
	s_delay_alu instid0(VALU_DEP_2) | instskip(NEXT) | instid1(VALU_DEP_2)
	v_mov_b32_dpp v14, v12 row_shr:1 row_mask:0xf bank_mask:0xf
	v_cmp_ne_u32_e32 vcc_lo, 0, v13
	s_delay_alu instid0(VALU_DEP_2) | instskip(SKIP_1) | instid1(VALU_DEP_2)
	v_cndmask_b32_e32 v14, 0, v14, vcc_lo
	v_cmp_lt_u32_e32 vcc_lo, 1, v13
	v_add_nc_u32_e32 v12, v14, v12
	s_delay_alu instid0(VALU_DEP_1) | instskip(NEXT) | instid1(VALU_DEP_1)
	v_mov_b32_dpp v14, v12 row_shr:2 row_mask:0xf bank_mask:0xf
	v_cndmask_b32_e32 v14, 0, v14, vcc_lo
	v_cmp_lt_u32_e32 vcc_lo, 3, v13
	s_delay_alu instid0(VALU_DEP_2) | instskip(NEXT) | instid1(VALU_DEP_1)
	v_add_nc_u32_e32 v12, v12, v14
	v_mov_b32_dpp v14, v12 row_shr:4 row_mask:0xf bank_mask:0xf
	s_delay_alu instid0(VALU_DEP_1) | instskip(SKIP_1) | instid1(VALU_DEP_2)
	v_cndmask_b32_e32 v14, 0, v14, vcc_lo
	v_cmp_lt_u32_e32 vcc_lo, 7, v13
	v_add_nc_u32_e32 v12, v12, v14
	s_delay_alu instid0(VALU_DEP_1) | instskip(NEXT) | instid1(VALU_DEP_1)
	v_mov_b32_dpp v14, v12 row_shr:8 row_mask:0xf bank_mask:0xf
	v_cndmask_b32_e32 v13, 0, v14, vcc_lo
	v_bfe_i32 v14, v11, 4, 1
	s_delay_alu instid0(VALU_DEP_2) | instskip(SKIP_4) | instid1(VALU_DEP_2)
	v_add_nc_u32_e32 v12, v12, v13
	ds_swizzle_b32 v13, v12 offset:swizzle(BROADCAST,32,15)
	s_waitcnt lgkmcnt(0)
	v_and_b32_e32 v13, v14, v13
	v_lshrrev_b32_e32 v14, 5, v0
	v_add_nc_u32_e32 v12, v12, v13
	s_delay_alu instid0(VALU_DEP_2)
	v_lshlrev_b32_e32 v13, 2, v14
	v_cmpx_eq_u32_e64 v15, v0
	s_cbranch_execz .LBB13_4
; %bb.3:
	ds_store_b32 v13, v12 offset:4096
.LBB13_4:
	s_or_b32 exec_lo, exec_lo, s0
	s_delay_alu instid0(SALU_CYCLE_1)
	s_mov_b32 s0, exec_lo
	s_waitcnt lgkmcnt(0)
	s_barrier
	buffer_gl0_inv
	v_cmpx_gt_u32_e32 4, v0
	s_cbranch_execz .LBB13_6
; %bb.5:
	v_and_b32_e32 v16, 3, v11
	s_delay_alu instid0(VALU_DEP_1) | instskip(SKIP_4) | instid1(VALU_DEP_1)
	v_cmp_ne_u32_e32 vcc_lo, 0, v16
	v_lshlrev_b32_e32 v14, 2, v0
	ds_load_b32 v15, v14 offset:4096
	s_waitcnt lgkmcnt(0)
	v_mov_b32_dpp v17, v15 row_shr:1 row_mask:0xf bank_mask:0xf
	v_cndmask_b32_e32 v17, 0, v17, vcc_lo
	v_cmp_lt_u32_e32 vcc_lo, 1, v16
	s_delay_alu instid0(VALU_DEP_2) | instskip(NEXT) | instid1(VALU_DEP_1)
	v_add_nc_u32_e32 v15, v17, v15
	v_mov_b32_dpp v17, v15 row_shr:2 row_mask:0xf bank_mask:0xf
	s_delay_alu instid0(VALU_DEP_1) | instskip(NEXT) | instid1(VALU_DEP_1)
	v_cndmask_b32_e32 v16, 0, v17, vcc_lo
	v_add_nc_u32_e32 v15, v15, v16
	ds_store_b32 v14, v15 offset:4096
.LBB13_6:
	s_or_b32 exec_lo, exec_lo, s0
	v_cmp_lt_u32_e32 vcc_lo, 31, v0
	v_mov_b32_e32 v14, 0
	v_mov_b32_e32 v0, 0
	s_waitcnt lgkmcnt(0)
	s_barrier
	buffer_gl0_inv
	s_and_saveexec_b32 s0, vcc_lo
	s_cbranch_execz .LBB13_8
; %bb.7:
	ds_load_b32 v0, v13 offset:4092
.LBB13_8:
	s_or_b32 exec_lo, exec_lo, s0
	v_add_nc_u32_e32 v13, -1, v11
	v_and_b32_e32 v1, 0xffff, v1
	v_and_b32_e32 v3, 0xffff, v3
	;; [unrolled: 1-line block ×4, first 2 shown]
	v_cmp_gt_i32_e32 vcc_lo, 0, v13
	s_add_u32 s0, s6, s2
	s_addc_u32 s1, s7, s3
	s_waitcnt lgkmcnt(0)
	v_dual_cndmask_b32 v13, v13, v11 :: v_dual_add_nc_u32 v12, v0, v12
	v_cmp_eq_u32_e32 vcc_lo, 0, v11
	s_delay_alu instid0(VALU_DEP_2)
	v_lshlrev_b32_e32 v13, 2, v13
	ds_bpermute_b32 v15, v13, v12
	ds_load_b32 v16, v14 offset:4108
	ds_load_2addr_b32 v[12:13], v10 offset1:1
	s_waitcnt lgkmcnt(2)
	v_cndmask_b32_e32 v0, v15, v0, vcc_lo
	ds_load_2addr_b32 v[14:15], v10 offset0:2 offset1:3
	s_waitcnt lgkmcnt(2)
	v_lshl_add_u32 v0, v16, 16, v0
	ds_load_2addr_b32 v[16:17], v10 offset0:4 offset1:5
	ds_load_b32 v11, v10 offset:24
	s_waitcnt lgkmcnt(3)
	v_add_nc_u32_e32 v12, v0, v12
	s_delay_alu instid0(VALU_DEP_1) | instskip(SKIP_1) | instid1(VALU_DEP_1)
	v_add_nc_u32_e32 v13, v13, v12
	s_waitcnt lgkmcnt(2)
	v_add_nc_u32_e32 v14, v14, v13
	s_delay_alu instid0(VALU_DEP_1) | instskip(SKIP_1) | instid1(VALU_DEP_1)
	v_add_nc_u32_e32 v15, v15, v14
	;; [unrolled: 4-line block ×3, first 2 shown]
	s_waitcnt lgkmcnt(0)
	v_add_nc_u32_e32 v11, v11, v17
	ds_store_2addr_b32 v10, v0, v12 offset1:1
	ds_store_2addr_b32 v10, v13, v14 offset0:2 offset1:3
	ds_store_2addr_b32 v10, v15, v16 offset0:4 offset1:5
	;; [unrolled: 1-line block ×3, first 2 shown]
	s_waitcnt lgkmcnt(0)
	s_barrier
	buffer_gl0_inv
	ds_load_u16 v0, v2
	ds_load_u16 v2, v6
	;; [unrolled: 1-line block ×4, first 2 shown]
	s_waitcnt lgkmcnt(3)
	v_add_nc_u32_e32 v0, v0, v1
	s_waitcnt lgkmcnt(2)
	v_add_nc_u32_e32 v1, v2, v3
	;; [unrolled: 2-line block ×4, first 2 shown]
	v_lshlrev_b32_e32 v4, 2, v5
	global_store_b128 v4, v[0:3], s[0:1]
	s_nop 0
	s_sendmsg sendmsg(MSG_DEALLOC_VGPRS)
	s_endpgm
	.section	.rodata,"a",@progbits
	.p2align	6, 0x0
	.amdhsa_kernel _Z11rank_kernelILj128ELj4ELj4ELb0EL18RadixRankAlgorithm0EiEvPKT4_Pijj
		.amdhsa_group_segment_fixed_size 4112
		.amdhsa_private_segment_fixed_size 0
		.amdhsa_kernarg_size 24
		.amdhsa_user_sgpr_count 15
		.amdhsa_user_sgpr_dispatch_ptr 0
		.amdhsa_user_sgpr_queue_ptr 0
		.amdhsa_user_sgpr_kernarg_segment_ptr 1
		.amdhsa_user_sgpr_dispatch_id 0
		.amdhsa_user_sgpr_private_segment_size 0
		.amdhsa_wavefront_size32 1
		.amdhsa_uses_dynamic_stack 0
		.amdhsa_enable_private_segment 0
		.amdhsa_system_sgpr_workgroup_id_x 1
		.amdhsa_system_sgpr_workgroup_id_y 0
		.amdhsa_system_sgpr_workgroup_id_z 0
		.amdhsa_system_sgpr_workgroup_info 0
		.amdhsa_system_vgpr_workitem_id 0
		.amdhsa_next_free_vgpr 19
		.amdhsa_next_free_sgpr 16
		.amdhsa_reserve_vcc 1
		.amdhsa_float_round_mode_32 0
		.amdhsa_float_round_mode_16_64 0
		.amdhsa_float_denorm_mode_32 3
		.amdhsa_float_denorm_mode_16_64 3
		.amdhsa_dx10_clamp 1
		.amdhsa_ieee_mode 1
		.amdhsa_fp16_overflow 0
		.amdhsa_workgroup_processor_mode 1
		.amdhsa_memory_ordered 1
		.amdhsa_forward_progress 0
		.amdhsa_shared_vgpr_count 0
		.amdhsa_exception_fp_ieee_invalid_op 0
		.amdhsa_exception_fp_denorm_src 0
		.amdhsa_exception_fp_ieee_div_zero 0
		.amdhsa_exception_fp_ieee_overflow 0
		.amdhsa_exception_fp_ieee_underflow 0
		.amdhsa_exception_fp_ieee_inexact 0
		.amdhsa_exception_int_div_zero 0
	.end_amdhsa_kernel
	.section	.text._Z11rank_kernelILj128ELj4ELj4ELb0EL18RadixRankAlgorithm0EiEvPKT4_Pijj,"axG",@progbits,_Z11rank_kernelILj128ELj4ELj4ELb0EL18RadixRankAlgorithm0EiEvPKT4_Pijj,comdat
.Lfunc_end13:
	.size	_Z11rank_kernelILj128ELj4ELj4ELb0EL18RadixRankAlgorithm0EiEvPKT4_Pijj, .Lfunc_end13-_Z11rank_kernelILj128ELj4ELj4ELb0EL18RadixRankAlgorithm0EiEvPKT4_Pijj
                                        ; -- End function
	.section	.AMDGPU.csdata,"",@progbits
; Kernel info:
; codeLenInByte = 1336
; NumSgprs: 18
; NumVgprs: 19
; ScratchSize: 0
; MemoryBound: 0
; FloatMode: 240
; IeeeMode: 1
; LDSByteSize: 4112 bytes/workgroup (compile time only)
; SGPRBlocks: 2
; VGPRBlocks: 2
; NumSGPRsForWavesPerEU: 18
; NumVGPRsForWavesPerEU: 19
; Occupancy: 16
; WaveLimiterHint : 0
; COMPUTE_PGM_RSRC2:SCRATCH_EN: 0
; COMPUTE_PGM_RSRC2:USER_SGPR: 15
; COMPUTE_PGM_RSRC2:TRAP_HANDLER: 0
; COMPUTE_PGM_RSRC2:TGID_X_EN: 1
; COMPUTE_PGM_RSRC2:TGID_Y_EN: 0
; COMPUTE_PGM_RSRC2:TGID_Z_EN: 0
; COMPUTE_PGM_RSRC2:TIDIG_COMP_CNT: 0
	.section	.text._Z11rank_kernelILj64ELj2ELj4ELb1EL18RadixRankAlgorithm0EyEvPKT4_Pijj,"axG",@progbits,_Z11rank_kernelILj64ELj2ELj4ELb1EL18RadixRankAlgorithm0EyEvPKT4_Pijj,comdat
	.protected	_Z11rank_kernelILj64ELj2ELj4ELb1EL18RadixRankAlgorithm0EyEvPKT4_Pijj ; -- Begin function _Z11rank_kernelILj64ELj2ELj4ELb1EL18RadixRankAlgorithm0EyEvPKT4_Pijj
	.globl	_Z11rank_kernelILj64ELj2ELj4ELb1EL18RadixRankAlgorithm0EyEvPKT4_Pijj
	.p2align	8
	.type	_Z11rank_kernelILj64ELj2ELj4ELb1EL18RadixRankAlgorithm0EyEvPKT4_Pijj,@function
_Z11rank_kernelILj64ELj2ELj4ELb1EL18RadixRankAlgorithm0EyEvPKT4_Pijj: ; @_Z11rank_kernelILj64ELj2ELj4ELb1EL18RadixRankAlgorithm0EyEvPKT4_Pijj
; %bb.0:
	s_load_b128 s[4:7], s[0:1], 0x0
	s_lshl_b32 s2, s15, 7
	s_mov_b32 s3, 0
	v_lshlrev_b32_e32 v1, 4, v0
	s_lshl_b64 s[8:9], s[2:3], 3
	v_lshlrev_b32_e32 v5, 1, v0
	v_lshlrev_b32_e32 v6, 2, v0
	s_waitcnt lgkmcnt(0)
	s_add_u32 s4, s4, s8
	s_addc_u32 s5, s5, s9
	global_load_b128 v[1:4], v1, s[4:5]
	s_mov_b32 s4, exec_lo
	v_cmpx_gt_u32_e32 0x200, v0
	s_cbranch_execz .LBB14_3
; %bb.1:
	v_or_b32_e32 v7, 0xffffffc0, v0
	v_dual_mov_b32 v8, 0 :: v_dual_mov_b32 v9, v6
	s_mov_b32 s5, s3
.LBB14_2:                               ; =>This Inner Loop Header: Depth=1
	s_delay_alu instid0(VALU_DEP_2) | instskip(SKIP_4) | instid1(SALU_CYCLE_1)
	v_add_nc_u32_e32 v7, 64, v7
	ds_store_b32 v9, v8
	v_add_nc_u32_e32 v9, 0x100, v9
	v_cmp_lt_u32_e32 vcc_lo, 0x1bf, v7
	s_or_b32 s5, vcc_lo, s5
	s_and_not1_b32 exec_lo, exec_lo, s5
	s_cbranch_execnz .LBB14_2
.LBB14_3:
	s_or_b32 exec_lo, exec_lo, s4
	s_load_b64 s[0:1], s[0:1], 0x10
	v_dual_mov_b32 v7, 15 :: v_dual_mov_b32 v8, 15
	s_waitcnt lgkmcnt(0)
	s_and_b32 s1, s1, 63
	s_delay_alu instid0(SALU_CYCLE_1)
	s_cmp_lg_u32 s1, 0
	s_cselect_b32 s5, -1, 0
	s_sub_u32 s4, 64, s1
	s_and_b32 vcc_lo, exec_lo, s5
	s_cbranch_vccz .LBB14_5
; %bb.4:
	s_and_b32 s8, s0, 63
	s_delay_alu instid0(SALU_CYCLE_1) | instskip(NEXT) | instid1(SALU_CYCLE_1)
	s_add_i32 s8, s8, s1
	s_sub_i32 s8, 64, s8
	s_waitcnt vmcnt(0)
	v_lshlrev_b64 v[1:2], s8, v[1:2]
	s_delay_alu instid0(VALU_DEP_1) | instskip(NEXT) | instid1(VALU_DEP_1)
	v_lshrrev_b64 v[1:2], s4, v[1:2]
	v_xor_b32_e32 v8, 15, v1
.LBB14_5:
	s_waitcnt vmcnt(0)
	s_delay_alu instid0(VALU_DEP_1) | instskip(SKIP_2) | instid1(VALU_DEP_2)
	v_lshlrev_b32_e32 v1, 6, v8
	v_lshrrev_b32_e32 v2, 3, v8
	s_and_not1_b32 vcc_lo, exec_lo, s5
	v_and_or_b32 v1, 0x1c0, v1, v0
	s_delay_alu instid0(VALU_DEP_1) | instskip(NEXT) | instid1(VALU_DEP_1)
	v_lshlrev_b32_e32 v1, 1, v1
	v_add_lshl_u32 v2, v1, v2, 1
	ds_load_u16 v1, v2
	s_waitcnt lgkmcnt(0)
	v_add_nc_u16 v8, v1, 1
	ds_store_b16 v2, v8
	s_cbranch_vccnz .LBB14_7
; %bb.6:
	s_and_b32 s0, s0, 63
	s_delay_alu instid0(SALU_CYCLE_1) | instskip(NEXT) | instid1(SALU_CYCLE_1)
	s_add_i32 s0, s0, s1
	s_sub_i32 s0, 64, s0
	s_delay_alu instid0(SALU_CYCLE_1) | instskip(NEXT) | instid1(VALU_DEP_1)
	v_lshlrev_b64 v[3:4], s0, v[3:4]
	v_lshrrev_b64 v[3:4], s4, v[3:4]
	s_delay_alu instid0(VALU_DEP_1)
	v_xor_b32_e32 v7, 15, v3
.LBB14_7:
	s_delay_alu instid0(VALU_DEP_1) | instskip(SKIP_3) | instid1(VALU_DEP_3)
	v_lshlrev_b32_e32 v3, 6, v7
	v_lshrrev_b32_e32 v4, 3, v7
	v_lshlrev_b32_e32 v7, 5, v0
	s_mov_b32 s0, exec_lo
	v_and_or_b32 v3, 0x1c0, v3, v0
	s_delay_alu instid0(VALU_DEP_1) | instskip(NEXT) | instid1(VALU_DEP_1)
	v_lshlrev_b32_e32 v3, 1, v3
	v_add_lshl_u32 v4, v3, v4, 1
	ds_load_u16 v3, v4
	s_waitcnt lgkmcnt(0)
	v_add_nc_u16 v8, v3, 1
	ds_store_b16 v4, v8
	s_waitcnt lgkmcnt(0)
	s_barrier
	buffer_gl0_inv
	ds_load_2addr_b32 v[8:9], v7 offset1:1
	ds_load_2addr_b32 v[10:11], v7 offset0:2 offset1:3
	ds_load_2addr_b32 v[12:13], v7 offset0:4 offset1:5
	;; [unrolled: 1-line block ×3, first 2 shown]
	s_waitcnt lgkmcnt(3)
	v_add_nc_u32_e32 v8, v9, v8
	s_waitcnt lgkmcnt(2)
	s_delay_alu instid0(VALU_DEP_1) | instskip(SKIP_1) | instid1(VALU_DEP_1)
	v_add3_u32 v8, v8, v10, v11
	s_waitcnt lgkmcnt(1)
	v_add3_u32 v9, v8, v12, v13
	v_mbcnt_lo_u32_b32 v8, -1, 0
	v_or_b32_e32 v12, 31, v0
	s_waitcnt lgkmcnt(0)
	s_delay_alu instid0(VALU_DEP_3) | instskip(NEXT) | instid1(VALU_DEP_3)
	v_add3_u32 v9, v9, v14, v15
	v_and_b32_e32 v10, 15, v8
	s_delay_alu instid0(VALU_DEP_2) | instskip(NEXT) | instid1(VALU_DEP_2)
	v_mov_b32_dpp v11, v9 row_shr:1 row_mask:0xf bank_mask:0xf
	v_cmp_ne_u32_e32 vcc_lo, 0, v10
	s_delay_alu instid0(VALU_DEP_2) | instskip(SKIP_1) | instid1(VALU_DEP_2)
	v_cndmask_b32_e32 v11, 0, v11, vcc_lo
	v_cmp_lt_u32_e32 vcc_lo, 1, v10
	v_add_nc_u32_e32 v9, v11, v9
	s_delay_alu instid0(VALU_DEP_1) | instskip(NEXT) | instid1(VALU_DEP_1)
	v_mov_b32_dpp v11, v9 row_shr:2 row_mask:0xf bank_mask:0xf
	v_cndmask_b32_e32 v11, 0, v11, vcc_lo
	v_cmp_lt_u32_e32 vcc_lo, 3, v10
	s_delay_alu instid0(VALU_DEP_2) | instskip(NEXT) | instid1(VALU_DEP_1)
	v_add_nc_u32_e32 v9, v9, v11
	v_mov_b32_dpp v11, v9 row_shr:4 row_mask:0xf bank_mask:0xf
	s_delay_alu instid0(VALU_DEP_1) | instskip(SKIP_1) | instid1(VALU_DEP_2)
	v_cndmask_b32_e32 v11, 0, v11, vcc_lo
	v_cmp_lt_u32_e32 vcc_lo, 7, v10
	v_add_nc_u32_e32 v9, v9, v11
	s_delay_alu instid0(VALU_DEP_1) | instskip(NEXT) | instid1(VALU_DEP_1)
	v_mov_b32_dpp v11, v9 row_shr:8 row_mask:0xf bank_mask:0xf
	v_cndmask_b32_e32 v10, 0, v11, vcc_lo
	v_bfe_i32 v11, v8, 4, 1
	s_delay_alu instid0(VALU_DEP_2) | instskip(SKIP_4) | instid1(VALU_DEP_2)
	v_add_nc_u32_e32 v9, v9, v10
	ds_swizzle_b32 v10, v9 offset:swizzle(BROADCAST,32,15)
	s_waitcnt lgkmcnt(0)
	v_and_b32_e32 v10, v11, v10
	v_lshrrev_b32_e32 v11, 5, v0
	v_add_nc_u32_e32 v9, v9, v10
	s_delay_alu instid0(VALU_DEP_2)
	v_lshlrev_b32_e32 v10, 2, v11
	v_cmpx_eq_u32_e64 v12, v0
	s_xor_b32 s0, exec_lo, s0
	s_cbranch_execz .LBB14_9
; %bb.8:
	ds_store_b32 v10, v9 offset:2048
.LBB14_9:
	s_or_b32 exec_lo, exec_lo, s0
	s_delay_alu instid0(SALU_CYCLE_1)
	s_mov_b32 s0, exec_lo
	s_waitcnt lgkmcnt(0)
	s_barrier
	buffer_gl0_inv
	v_cmpx_gt_u32_e32 2, v0
	s_cbranch_execz .LBB14_11
; %bb.10:
	ds_load_b32 v11, v6 offset:2048
	v_bfe_i32 v12, v8, 0, 1
	s_waitcnt lgkmcnt(0)
	v_mov_b32_dpp v13, v11 row_shr:1 row_mask:0xf bank_mask:0xf
	s_delay_alu instid0(VALU_DEP_1) | instskip(NEXT) | instid1(VALU_DEP_1)
	v_and_b32_e32 v12, v12, v13
	v_add_nc_u32_e32 v11, v12, v11
	ds_store_b32 v6, v11 offset:2048
.LBB14_11:
	s_or_b32 exec_lo, exec_lo, s0
	v_cmp_lt_u32_e32 vcc_lo, 31, v0
	v_mov_b32_e32 v6, 0
	v_mov_b32_e32 v0, 0
	s_waitcnt lgkmcnt(0)
	s_barrier
	buffer_gl0_inv
	s_and_saveexec_b32 s0, vcc_lo
	s_cbranch_execz .LBB14_13
; %bb.12:
	ds_load_b32 v0, v10 offset:2044
.LBB14_13:
	s_or_b32 exec_lo, exec_lo, s0
	v_add_nc_u32_e32 v10, -1, v8
	v_and_b32_e32 v1, 0xffff, v1
	v_and_b32_e32 v3, 0xffff, v3
	s_lshl_b64 s[0:1], s[2:3], 2
	s_waitcnt lgkmcnt(0)
	v_add_nc_u32_e32 v9, v0, v9
	v_cmp_gt_i32_e32 vcc_lo, 0, v10
	s_add_u32 s0, s6, s0
	s_addc_u32 s1, s7, s1
	v_cndmask_b32_e32 v10, v10, v8, vcc_lo
	v_cmp_eq_u32_e32 vcc_lo, 0, v8
	s_delay_alu instid0(VALU_DEP_2)
	v_lshlrev_b32_e32 v10, 2, v10
	ds_bpermute_b32 v11, v10, v9
	ds_load_b32 v6, v6 offset:2052
	ds_load_2addr_b32 v[9:10], v7 offset1:1
	s_waitcnt lgkmcnt(2)
	v_cndmask_b32_e32 v0, v11, v0, vcc_lo
	ds_load_2addr_b32 v[11:12], v7 offset0:2 offset1:3
	s_waitcnt lgkmcnt(2)
	v_lshl_add_u32 v0, v6, 16, v0
	ds_load_2addr_b32 v[13:14], v7 offset0:4 offset1:5
	ds_load_b32 v6, v7 offset:24
	s_waitcnt lgkmcnt(3)
	v_add_nc_u32_e32 v8, v0, v9
	s_delay_alu instid0(VALU_DEP_1) | instskip(SKIP_1) | instid1(VALU_DEP_1)
	v_add_nc_u32_e32 v9, v10, v8
	s_waitcnt lgkmcnt(2)
	v_add_nc_u32_e32 v10, v11, v9
	s_delay_alu instid0(VALU_DEP_1) | instskip(SKIP_1) | instid1(VALU_DEP_1)
	v_add_nc_u32_e32 v11, v12, v10
	;; [unrolled: 4-line block ×3, first 2 shown]
	s_waitcnt lgkmcnt(0)
	v_add_nc_u32_e32 v6, v6, v13
	ds_store_2addr_b32 v7, v0, v8 offset1:1
	ds_store_2addr_b32 v7, v9, v10 offset0:2 offset1:3
	ds_store_2addr_b32 v7, v11, v12 offset0:4 offset1:5
	;; [unrolled: 1-line block ×3, first 2 shown]
	s_waitcnt lgkmcnt(0)
	s_barrier
	buffer_gl0_inv
	ds_load_u16 v0, v2
	ds_load_u16 v2, v4
	s_waitcnt lgkmcnt(1)
	v_add_nc_u32_e32 v0, v0, v1
	s_waitcnt lgkmcnt(0)
	v_add_nc_u32_e32 v1, v2, v3
	v_lshlrev_b32_e32 v2, 2, v5
	global_store_b64 v2, v[0:1], s[0:1]
	s_nop 0
	s_sendmsg sendmsg(MSG_DEALLOC_VGPRS)
	s_endpgm
	.section	.rodata,"a",@progbits
	.p2align	6, 0x0
	.amdhsa_kernel _Z11rank_kernelILj64ELj2ELj4ELb1EL18RadixRankAlgorithm0EyEvPKT4_Pijj
		.amdhsa_group_segment_fixed_size 2064
		.amdhsa_private_segment_fixed_size 0
		.amdhsa_kernarg_size 24
		.amdhsa_user_sgpr_count 15
		.amdhsa_user_sgpr_dispatch_ptr 0
		.amdhsa_user_sgpr_queue_ptr 0
		.amdhsa_user_sgpr_kernarg_segment_ptr 1
		.amdhsa_user_sgpr_dispatch_id 0
		.amdhsa_user_sgpr_private_segment_size 0
		.amdhsa_wavefront_size32 1
		.amdhsa_uses_dynamic_stack 0
		.amdhsa_enable_private_segment 0
		.amdhsa_system_sgpr_workgroup_id_x 1
		.amdhsa_system_sgpr_workgroup_id_y 0
		.amdhsa_system_sgpr_workgroup_id_z 0
		.amdhsa_system_sgpr_workgroup_info 0
		.amdhsa_system_vgpr_workitem_id 0
		.amdhsa_next_free_vgpr 16
		.amdhsa_next_free_sgpr 16
		.amdhsa_reserve_vcc 1
		.amdhsa_float_round_mode_32 0
		.amdhsa_float_round_mode_16_64 0
		.amdhsa_float_denorm_mode_32 3
		.amdhsa_float_denorm_mode_16_64 3
		.amdhsa_dx10_clamp 1
		.amdhsa_ieee_mode 1
		.amdhsa_fp16_overflow 0
		.amdhsa_workgroup_processor_mode 1
		.amdhsa_memory_ordered 1
		.amdhsa_forward_progress 0
		.amdhsa_shared_vgpr_count 0
		.amdhsa_exception_fp_ieee_invalid_op 0
		.amdhsa_exception_fp_denorm_src 0
		.amdhsa_exception_fp_ieee_div_zero 0
		.amdhsa_exception_fp_ieee_overflow 0
		.amdhsa_exception_fp_ieee_underflow 0
		.amdhsa_exception_fp_ieee_inexact 0
		.amdhsa_exception_int_div_zero 0
	.end_amdhsa_kernel
	.section	.text._Z11rank_kernelILj64ELj2ELj4ELb1EL18RadixRankAlgorithm0EyEvPKT4_Pijj,"axG",@progbits,_Z11rank_kernelILj64ELj2ELj4ELb1EL18RadixRankAlgorithm0EyEvPKT4_Pijj,comdat
.Lfunc_end14:
	.size	_Z11rank_kernelILj64ELj2ELj4ELb1EL18RadixRankAlgorithm0EyEvPKT4_Pijj, .Lfunc_end14-_Z11rank_kernelILj64ELj2ELj4ELb1EL18RadixRankAlgorithm0EyEvPKT4_Pijj
                                        ; -- End function
	.section	.AMDGPU.csdata,"",@progbits
; Kernel info:
; codeLenInByte = 1140
; NumSgprs: 18
; NumVgprs: 16
; ScratchSize: 0
; MemoryBound: 0
; FloatMode: 240
; IeeeMode: 1
; LDSByteSize: 2064 bytes/workgroup (compile time only)
; SGPRBlocks: 2
; VGPRBlocks: 1
; NumSGPRsForWavesPerEU: 18
; NumVGPRsForWavesPerEU: 16
; Occupancy: 16
; WaveLimiterHint : 0
; COMPUTE_PGM_RSRC2:SCRATCH_EN: 0
; COMPUTE_PGM_RSRC2:USER_SGPR: 15
; COMPUTE_PGM_RSRC2:TRAP_HANDLER: 0
; COMPUTE_PGM_RSRC2:TGID_X_EN: 1
; COMPUTE_PGM_RSRC2:TGID_Y_EN: 0
; COMPUTE_PGM_RSRC2:TGID_Z_EN: 0
; COMPUTE_PGM_RSRC2:TIDIG_COMP_CNT: 0
	.section	.text._Z11rank_kernelILj255ELj1ELj4ELb0EL18RadixRankAlgorithm0EhEvPKT4_Pijj,"axG",@progbits,_Z11rank_kernelILj255ELj1ELj4ELb0EL18RadixRankAlgorithm0EhEvPKT4_Pijj,comdat
	.protected	_Z11rank_kernelILj255ELj1ELj4ELb0EL18RadixRankAlgorithm0EhEvPKT4_Pijj ; -- Begin function _Z11rank_kernelILj255ELj1ELj4ELb0EL18RadixRankAlgorithm0EhEvPKT4_Pijj
	.globl	_Z11rank_kernelILj255ELj1ELj4ELb0EL18RadixRankAlgorithm0EhEvPKT4_Pijj
	.p2align	8
	.type	_Z11rank_kernelILj255ELj1ELj4ELb0EL18RadixRankAlgorithm0EhEvPKT4_Pijj,@function
_Z11rank_kernelILj255ELj1ELj4ELb0EL18RadixRankAlgorithm0EhEvPKT4_Pijj: ; @_Z11rank_kernelILj255ELj1ELj4ELb0EL18RadixRankAlgorithm0EhEvPKT4_Pijj
; %bb.0:
	s_load_b128 s[4:7], s[0:1], 0x0
	s_mul_i32 s2, s15, 0xff
	v_dual_mov_b32 v2, 0 :: v_dual_lshlrev_b32 v3, 2, v0
	v_add_nc_u32_e32 v4, 0xffffff01, v0
	s_mov_b32 s3, 0
	s_waitcnt lgkmcnt(0)
	s_add_u32 s4, s4, s2
	s_addc_u32 s5, s5, 0
	global_load_u8 v1, v0, s[4:5]
	s_mov_b32 s4, s3
.LBB15_1:                               ; =>This Inner Loop Header: Depth=1
	v_add_nc_u32_e32 v4, 0xff, v4
	ds_store_b32 v3, v2
	v_add_nc_u32_e32 v3, 0x3fc, v3
	v_cmp_lt_u32_e32 vcc_lo, 0x6f8, v4
	s_or_b32 s4, vcc_lo, s4
	s_delay_alu instid0(SALU_CYCLE_1)
	s_and_not1_b32 exec_lo, exec_lo, s4
	s_cbranch_execnz .LBB15_1
; %bb.2:
	s_or_b32 exec_lo, exec_lo, s4
	s_load_b64 s[0:1], s[0:1], 0x10
	s_waitcnt vmcnt(0)
	v_and_b32_e32 v1, 0xff, v1
	v_lshlrev_b32_e32 v3, 5, v0
	s_waitcnt lgkmcnt(0)
	s_and_b32 s1, s1, 31
	s_and_b32 s0, s0, 31
	s_delay_alu instid0(SALU_CYCLE_1) | instskip(NEXT) | instid1(SALU_CYCLE_1)
	s_add_i32 s0, s0, s1
	s_sub_i32 s0, 32, s0
	s_delay_alu instid0(SALU_CYCLE_1) | instskip(SKIP_3) | instid1(VALU_DEP_1)
	v_lshlrev_b32_e32 v1, s0, v1
	s_sub_i32 s0, 32, s1
	s_cmp_lg_u32 s1, 0
	s_cselect_b32 vcc_lo, -1, 0
	v_bfe_u32 v1, v1, s0, 8
	s_delay_alu instid0(VALU_DEP_1) | instskip(NEXT) | instid1(VALU_DEP_1)
	v_cndmask_b32_e32 v1, 0, v1, vcc_lo
	v_and_b32_e32 v2, 7, v1
	v_lshrrev_b32_e32 v1, 3, v1
	s_delay_alu instid0(VALU_DEP_2) | instskip(NEXT) | instid1(VALU_DEP_1)
	v_mul_u32_u24_e32 v2, 0xff, v2
	v_add_lshl_u32 v2, v2, v0, 1
	s_delay_alu instid0(VALU_DEP_1)
	v_add_lshl_u32 v1, v2, v1, 1
	ds_load_u16 v2, v1
	s_waitcnt lgkmcnt(0)
	v_add_nc_u16 v4, v2, 1
	ds_store_b16 v1, v4
	s_waitcnt lgkmcnt(0)
	s_barrier
	buffer_gl0_inv
	ds_load_2addr_b32 v[4:5], v3 offset1:1
	ds_load_2addr_b32 v[6:7], v3 offset0:2 offset1:3
	ds_load_2addr_b32 v[8:9], v3 offset0:4 offset1:5
	;; [unrolled: 1-line block ×3, first 2 shown]
	s_waitcnt lgkmcnt(3)
	v_add_nc_u32_e32 v4, v5, v4
	s_waitcnt lgkmcnt(2)
	s_delay_alu instid0(VALU_DEP_1) | instskip(SKIP_1) | instid1(VALU_DEP_1)
	v_add3_u32 v4, v4, v6, v7
	s_waitcnt lgkmcnt(1)
	v_add3_u32 v5, v4, v8, v9
	v_mbcnt_lo_u32_b32 v4, -1, 0
	s_waitcnt lgkmcnt(0)
	s_delay_alu instid0(VALU_DEP_2) | instskip(NEXT) | instid1(VALU_DEP_2)
	v_add3_u32 v5, v5, v10, v11
	v_and_b32_e32 v6, 15, v4
	v_bfe_i32 v8, v4, 4, 1
	s_delay_alu instid0(VALU_DEP_3) | instskip(NEXT) | instid1(VALU_DEP_3)
	v_mov_b32_dpp v7, v5 row_shr:1 row_mask:0xf bank_mask:0xf
	v_cmp_ne_u32_e32 vcc_lo, 0, v6
	s_delay_alu instid0(VALU_DEP_2) | instskip(SKIP_1) | instid1(VALU_DEP_2)
	v_cndmask_b32_e32 v7, 0, v7, vcc_lo
	v_cmp_lt_u32_e32 vcc_lo, 1, v6
	v_add_nc_u32_e32 v5, v7, v5
	s_delay_alu instid0(VALU_DEP_1) | instskip(NEXT) | instid1(VALU_DEP_1)
	v_mov_b32_dpp v7, v5 row_shr:2 row_mask:0xf bank_mask:0xf
	v_cndmask_b32_e32 v7, 0, v7, vcc_lo
	v_cmp_lt_u32_e32 vcc_lo, 3, v6
	s_delay_alu instid0(VALU_DEP_2) | instskip(NEXT) | instid1(VALU_DEP_1)
	v_add_nc_u32_e32 v5, v5, v7
	v_mov_b32_dpp v7, v5 row_shr:4 row_mask:0xf bank_mask:0xf
	s_delay_alu instid0(VALU_DEP_1) | instskip(SKIP_1) | instid1(VALU_DEP_2)
	v_cndmask_b32_e32 v7, 0, v7, vcc_lo
	v_cmp_lt_u32_e32 vcc_lo, 7, v6
	v_add_nc_u32_e32 v5, v5, v7
	s_delay_alu instid0(VALU_DEP_1) | instskip(NEXT) | instid1(VALU_DEP_1)
	v_mov_b32_dpp v7, v5 row_shr:8 row_mask:0xf bank_mask:0xf
	v_dual_cndmask_b32 v6, 0, v7 :: v_dual_and_b32 v7, 0xe0, v0
	s_delay_alu instid0(VALU_DEP_1) | instskip(NEXT) | instid1(VALU_DEP_2)
	v_add_nc_u32_e32 v5, v5, v6
	v_min_u32_e32 v7, 0xdf, v7
	ds_swizzle_b32 v6, v5 offset:swizzle(BROADCAST,32,15)
	v_add_nc_u32_e32 v7, 31, v7
	s_delay_alu instid0(VALU_DEP_1) | instskip(SKIP_3) | instid1(VALU_DEP_2)
	v_cmp_eq_u32_e32 vcc_lo, v7, v0
	s_waitcnt lgkmcnt(0)
	v_and_b32_e32 v6, v8, v6
	v_lshrrev_b32_e32 v8, 5, v0
	v_add_nc_u32_e32 v6, v5, v6
	s_delay_alu instid0(VALU_DEP_2)
	v_lshlrev_b32_e32 v7, 2, v8
	s_and_saveexec_b32 s0, vcc_lo
	s_cbranch_execz .LBB15_4
; %bb.3:
	ds_store_b32 v7, v6 offset:8160
.LBB15_4:
	s_or_b32 exec_lo, exec_lo, s0
	v_lshlrev_b32_e32 v5, 2, v0
	s_mov_b32 s0, exec_lo
	s_waitcnt lgkmcnt(0)
	s_barrier
	buffer_gl0_inv
	v_cmpx_gt_u32_e32 8, v0
	s_cbranch_execz .LBB15_6
; %bb.5:
	ds_load_b32 v8, v5 offset:8160
	s_waitcnt lgkmcnt(0)
	v_mov_b32_dpp v10, v8 row_shr:1 row_mask:0xf bank_mask:0xf
	v_and_b32_e32 v9, 7, v4
	s_delay_alu instid0(VALU_DEP_1) | instskip(NEXT) | instid1(VALU_DEP_3)
	v_cmp_ne_u32_e32 vcc_lo, 0, v9
	v_cndmask_b32_e32 v10, 0, v10, vcc_lo
	v_cmp_lt_u32_e32 vcc_lo, 1, v9
	s_delay_alu instid0(VALU_DEP_2) | instskip(NEXT) | instid1(VALU_DEP_1)
	v_add_nc_u32_e32 v8, v10, v8
	v_mov_b32_dpp v10, v8 row_shr:2 row_mask:0xf bank_mask:0xf
	s_delay_alu instid0(VALU_DEP_1) | instskip(SKIP_1) | instid1(VALU_DEP_2)
	v_cndmask_b32_e32 v10, 0, v10, vcc_lo
	v_cmp_lt_u32_e32 vcc_lo, 3, v9
	v_add_nc_u32_e32 v8, v8, v10
	s_delay_alu instid0(VALU_DEP_1) | instskip(NEXT) | instid1(VALU_DEP_1)
	v_mov_b32_dpp v10, v8 row_shr:4 row_mask:0xf bank_mask:0xf
	v_cndmask_b32_e32 v9, 0, v10, vcc_lo
	s_delay_alu instid0(VALU_DEP_1)
	v_add_nc_u32_e32 v8, v8, v9
	ds_store_b32 v5, v8 offset:8160
.LBB15_6:
	s_or_b32 exec_lo, exec_lo, s0
	v_cmp_lt_u32_e32 vcc_lo, 31, v0
	v_mov_b32_e32 v8, 0
	v_mov_b32_e32 v0, 0
	s_waitcnt lgkmcnt(0)
	s_barrier
	buffer_gl0_inv
	s_and_saveexec_b32 s0, vcc_lo
	s_cbranch_execz .LBB15_8
; %bb.7:
	ds_load_b32 v0, v7 offset:8156
.LBB15_8:
	s_or_b32 exec_lo, exec_lo, s0
	v_add_nc_u32_e32 v7, -1, v4
	s_lshl_b64 s[0:1], s[2:3], 2
	s_waitcnt lgkmcnt(0)
	v_add_nc_u32_e32 v6, v0, v6
	s_add_u32 s0, s6, s0
	s_addc_u32 s1, s7, s1
	v_cmp_gt_i32_e32 vcc_lo, 0, v7
	v_cndmask_b32_e32 v7, v7, v4, vcc_lo
	v_cmp_eq_u32_e32 vcc_lo, 0, v4
	s_delay_alu instid0(VALU_DEP_2)
	v_lshlrev_b32_e32 v7, 2, v7
	ds_bpermute_b32 v9, v7, v6
	ds_load_b32 v10, v8 offset:8188
	ds_load_2addr_b32 v[6:7], v3 offset1:1
	s_waitcnt lgkmcnt(2)
	v_cndmask_b32_e32 v0, v9, v0, vcc_lo
	ds_load_2addr_b32 v[8:9], v3 offset0:2 offset1:3
	s_waitcnt lgkmcnt(2)
	v_lshl_add_u32 v0, v10, 16, v0
	ds_load_2addr_b32 v[10:11], v3 offset0:4 offset1:5
	ds_load_b32 v4, v3 offset:24
	s_waitcnt lgkmcnt(3)
	v_add_nc_u32_e32 v6, v0, v6
	s_delay_alu instid0(VALU_DEP_1) | instskip(SKIP_1) | instid1(VALU_DEP_1)
	v_add_nc_u32_e32 v7, v7, v6
	s_waitcnt lgkmcnt(2)
	v_add_nc_u32_e32 v8, v8, v7
	s_delay_alu instid0(VALU_DEP_1) | instskip(SKIP_1) | instid1(VALU_DEP_1)
	v_add_nc_u32_e32 v9, v9, v8
	;; [unrolled: 4-line block ×3, first 2 shown]
	s_waitcnt lgkmcnt(0)
	v_add_nc_u32_e32 v4, v4, v11
	ds_store_2addr_b32 v3, v0, v6 offset1:1
	ds_store_2addr_b32 v3, v7, v8 offset0:2 offset1:3
	ds_store_2addr_b32 v3, v9, v10 offset0:4 offset1:5
	;; [unrolled: 1-line block ×3, first 2 shown]
	s_waitcnt lgkmcnt(0)
	s_barrier
	buffer_gl0_inv
	ds_load_u16 v0, v1
	v_and_b32_e32 v1, 0xffff, v2
	s_waitcnt lgkmcnt(0)
	s_delay_alu instid0(VALU_DEP_1)
	v_add_nc_u32_e32 v0, v0, v1
	global_store_b32 v5, v0, s[0:1]
	s_nop 0
	s_sendmsg sendmsg(MSG_DEALLOC_VGPRS)
	s_endpgm
	.section	.rodata,"a",@progbits
	.p2align	6, 0x0
	.amdhsa_kernel _Z11rank_kernelILj255ELj1ELj4ELb0EL18RadixRankAlgorithm0EhEvPKT4_Pijj
		.amdhsa_group_segment_fixed_size 8192
		.amdhsa_private_segment_fixed_size 0
		.amdhsa_kernarg_size 24
		.amdhsa_user_sgpr_count 15
		.amdhsa_user_sgpr_dispatch_ptr 0
		.amdhsa_user_sgpr_queue_ptr 0
		.amdhsa_user_sgpr_kernarg_segment_ptr 1
		.amdhsa_user_sgpr_dispatch_id 0
		.amdhsa_user_sgpr_private_segment_size 0
		.amdhsa_wavefront_size32 1
		.amdhsa_uses_dynamic_stack 0
		.amdhsa_enable_private_segment 0
		.amdhsa_system_sgpr_workgroup_id_x 1
		.amdhsa_system_sgpr_workgroup_id_y 0
		.amdhsa_system_sgpr_workgroup_id_z 0
		.amdhsa_system_sgpr_workgroup_info 0
		.amdhsa_system_vgpr_workitem_id 0
		.amdhsa_next_free_vgpr 12
		.amdhsa_next_free_sgpr 16
		.amdhsa_reserve_vcc 1
		.amdhsa_float_round_mode_32 0
		.amdhsa_float_round_mode_16_64 0
		.amdhsa_float_denorm_mode_32 3
		.amdhsa_float_denorm_mode_16_64 3
		.amdhsa_dx10_clamp 1
		.amdhsa_ieee_mode 1
		.amdhsa_fp16_overflow 0
		.amdhsa_workgroup_processor_mode 1
		.amdhsa_memory_ordered 1
		.amdhsa_forward_progress 0
		.amdhsa_shared_vgpr_count 0
		.amdhsa_exception_fp_ieee_invalid_op 0
		.amdhsa_exception_fp_denorm_src 0
		.amdhsa_exception_fp_ieee_div_zero 0
		.amdhsa_exception_fp_ieee_overflow 0
		.amdhsa_exception_fp_ieee_underflow 0
		.amdhsa_exception_fp_ieee_inexact 0
		.amdhsa_exception_int_div_zero 0
	.end_amdhsa_kernel
	.section	.text._Z11rank_kernelILj255ELj1ELj4ELb0EL18RadixRankAlgorithm0EhEvPKT4_Pijj,"axG",@progbits,_Z11rank_kernelILj255ELj1ELj4ELb0EL18RadixRankAlgorithm0EhEvPKT4_Pijj,comdat
.Lfunc_end15:
	.size	_Z11rank_kernelILj255ELj1ELj4ELb0EL18RadixRankAlgorithm0EhEvPKT4_Pijj, .Lfunc_end15-_Z11rank_kernelILj255ELj1ELj4ELb0EL18RadixRankAlgorithm0EhEvPKT4_Pijj
                                        ; -- End function
	.section	.AMDGPU.csdata,"",@progbits
; Kernel info:
; codeLenInByte = 1024
; NumSgprs: 18
; NumVgprs: 12
; ScratchSize: 0
; MemoryBound: 0
; FloatMode: 240
; IeeeMode: 1
; LDSByteSize: 8192 bytes/workgroup (compile time only)
; SGPRBlocks: 2
; VGPRBlocks: 1
; NumSGPRsForWavesPerEU: 18
; NumVGPRsForWavesPerEU: 12
; Occupancy: 16
; WaveLimiterHint : 0
; COMPUTE_PGM_RSRC2:SCRATCH_EN: 0
; COMPUTE_PGM_RSRC2:USER_SGPR: 15
; COMPUTE_PGM_RSRC2:TRAP_HANDLER: 0
; COMPUTE_PGM_RSRC2:TGID_X_EN: 1
; COMPUTE_PGM_RSRC2:TGID_Y_EN: 0
; COMPUTE_PGM_RSRC2:TGID_Z_EN: 0
; COMPUTE_PGM_RSRC2:TIDIG_COMP_CNT: 0
	.section	.text._Z11rank_kernelILj162ELj1ELj4ELb0EL18RadixRankAlgorithm0EjEvPKT4_Pijj,"axG",@progbits,_Z11rank_kernelILj162ELj1ELj4ELb0EL18RadixRankAlgorithm0EjEvPKT4_Pijj,comdat
	.protected	_Z11rank_kernelILj162ELj1ELj4ELb0EL18RadixRankAlgorithm0EjEvPKT4_Pijj ; -- Begin function _Z11rank_kernelILj162ELj1ELj4ELb0EL18RadixRankAlgorithm0EjEvPKT4_Pijj
	.globl	_Z11rank_kernelILj162ELj1ELj4ELb0EL18RadixRankAlgorithm0EjEvPKT4_Pijj
	.p2align	8
	.type	_Z11rank_kernelILj162ELj1ELj4ELb0EL18RadixRankAlgorithm0EjEvPKT4_Pijj,@function
_Z11rank_kernelILj162ELj1ELj4ELb0EL18RadixRankAlgorithm0EjEvPKT4_Pijj: ; @_Z11rank_kernelILj162ELj1ELj4ELb0EL18RadixRankAlgorithm0EjEvPKT4_Pijj
; %bb.0:
	s_load_b128 s[4:7], s[0:1], 0x0
	s_mul_i32 s8, s15, 0xa2
	s_mov_b32 s9, 0
	v_dual_mov_b32 v3, 0 :: v_dual_lshlrev_b32 v2, 2, v0
	s_lshl_b64 s[2:3], s[8:9], 2
	v_add_nc_u32_e32 v4, 0xffffff5e, v0
	s_waitcnt lgkmcnt(0)
	s_add_u32 s4, s4, s2
	s_addc_u32 s5, s5, s3
	global_load_b32 v1, v2, s[4:5]
.LBB16_1:                               ; =>This Inner Loop Header: Depth=1
	v_add_nc_u32_e32 v4, 0xa2, v4
	ds_store_b32 v2, v3
	v_add_nc_u32_e32 v2, 0x288, v2
	v_cmp_lt_u32_e32 vcc_lo, 0x46d, v4
	s_or_b32 s9, vcc_lo, s9
	s_delay_alu instid0(SALU_CYCLE_1)
	s_and_not1_b32 exec_lo, exec_lo, s9
	s_cbranch_execnz .LBB16_1
; %bb.2:
	s_or_b32 exec_lo, exec_lo, s9
	s_load_b64 s[0:1], s[0:1], 0x10
	v_lshlrev_b32_e32 v3, 5, v0
	s_waitcnt lgkmcnt(0)
	s_and_b32 s1, s1, 31
	s_and_b32 s0, s0, 31
	s_delay_alu instid0(SALU_CYCLE_1) | instskip(NEXT) | instid1(SALU_CYCLE_1)
	s_add_i32 s0, s0, s1
	s_sub_i32 s0, 32, s0
	s_waitcnt vmcnt(0)
	v_lshlrev_b32_e32 v1, s0, v1
	s_sub_i32 s0, 32, s1
	s_cmp_lg_u32 s1, 0
	s_cselect_b32 vcc_lo, -1, 0
	s_delay_alu instid0(VALU_DEP_1) | instskip(NEXT) | instid1(VALU_DEP_1)
	v_lshrrev_b32_e32 v1, s0, v1
	v_cndmask_b32_e32 v1, 0, v1, vcc_lo
	s_delay_alu instid0(VALU_DEP_1) | instskip(SKIP_1) | instid1(VALU_DEP_2)
	v_and_b32_e32 v2, 7, v1
	v_lshrrev_b32_e32 v1, 3, v1
	v_mul_u32_u24_e32 v2, 0xa2, v2
	s_delay_alu instid0(VALU_DEP_1) | instskip(NEXT) | instid1(VALU_DEP_1)
	v_add_lshl_u32 v2, v2, v0, 1
	v_add_lshl_u32 v1, v2, v1, 1
	ds_load_u16 v2, v1
	s_waitcnt lgkmcnt(0)
	v_add_nc_u16 v4, v2, 1
	ds_store_b16 v1, v4
	s_waitcnt lgkmcnt(0)
	s_barrier
	buffer_gl0_inv
	ds_load_2addr_b32 v[4:5], v3 offset1:1
	ds_load_2addr_b32 v[6:7], v3 offset0:2 offset1:3
	ds_load_2addr_b32 v[8:9], v3 offset0:4 offset1:5
	;; [unrolled: 1-line block ×3, first 2 shown]
	s_waitcnt lgkmcnt(3)
	v_add_nc_u32_e32 v4, v5, v4
	s_waitcnt lgkmcnt(2)
	s_delay_alu instid0(VALU_DEP_1) | instskip(SKIP_1) | instid1(VALU_DEP_1)
	v_add3_u32 v4, v4, v6, v7
	s_waitcnt lgkmcnt(1)
	v_add3_u32 v5, v4, v8, v9
	v_mbcnt_lo_u32_b32 v4, -1, 0
	s_waitcnt lgkmcnt(0)
	s_delay_alu instid0(VALU_DEP_2) | instskip(NEXT) | instid1(VALU_DEP_2)
	v_add3_u32 v5, v5, v10, v11
	v_and_b32_e32 v6, 15, v4
	v_bfe_i32 v8, v4, 4, 1
	s_delay_alu instid0(VALU_DEP_3) | instskip(NEXT) | instid1(VALU_DEP_3)
	v_mov_b32_dpp v7, v5 row_shr:1 row_mask:0xf bank_mask:0xf
	v_cmp_ne_u32_e32 vcc_lo, 0, v6
	s_delay_alu instid0(VALU_DEP_2) | instskip(SKIP_1) | instid1(VALU_DEP_2)
	v_cndmask_b32_e32 v7, 0, v7, vcc_lo
	v_cmp_lt_u32_e32 vcc_lo, 1, v6
	v_add_nc_u32_e32 v5, v7, v5
	s_delay_alu instid0(VALU_DEP_1) | instskip(NEXT) | instid1(VALU_DEP_1)
	v_mov_b32_dpp v7, v5 row_shr:2 row_mask:0xf bank_mask:0xf
	v_cndmask_b32_e32 v7, 0, v7, vcc_lo
	v_cmp_lt_u32_e32 vcc_lo, 3, v6
	s_delay_alu instid0(VALU_DEP_2) | instskip(NEXT) | instid1(VALU_DEP_1)
	v_add_nc_u32_e32 v5, v5, v7
	v_mov_b32_dpp v7, v5 row_shr:4 row_mask:0xf bank_mask:0xf
	s_delay_alu instid0(VALU_DEP_1) | instskip(SKIP_1) | instid1(VALU_DEP_2)
	v_cndmask_b32_e32 v7, 0, v7, vcc_lo
	v_cmp_lt_u32_e32 vcc_lo, 7, v6
	v_add_nc_u32_e32 v5, v5, v7
	s_delay_alu instid0(VALU_DEP_1) | instskip(NEXT) | instid1(VALU_DEP_1)
	v_mov_b32_dpp v7, v5 row_shr:8 row_mask:0xf bank_mask:0xf
	v_dual_cndmask_b32 v6, 0, v7 :: v_dual_and_b32 v7, 0xe0, v0
	s_delay_alu instid0(VALU_DEP_1) | instskip(NEXT) | instid1(VALU_DEP_2)
	v_add_nc_u32_e32 v5, v5, v6
	v_min_u32_e32 v7, 0x82, v7
	ds_swizzle_b32 v6, v5 offset:swizzle(BROADCAST,32,15)
	v_add_nc_u32_e32 v7, 31, v7
	s_delay_alu instid0(VALU_DEP_1) | instskip(SKIP_3) | instid1(VALU_DEP_2)
	v_cmp_eq_u32_e32 vcc_lo, v7, v0
	s_waitcnt lgkmcnt(0)
	v_and_b32_e32 v6, v8, v6
	v_lshrrev_b32_e32 v8, 5, v0
	v_add_nc_u32_e32 v6, v5, v6
	s_delay_alu instid0(VALU_DEP_2)
	v_lshlrev_b32_e32 v7, 2, v8
	s_and_saveexec_b32 s0, vcc_lo
	s_cbranch_execz .LBB16_4
; %bb.3:
	ds_store_b32 v7, v6 offset:5184
.LBB16_4:
	s_or_b32 exec_lo, exec_lo, s0
	v_lshlrev_b32_e32 v5, 2, v0
	s_mov_b32 s0, exec_lo
	s_waitcnt lgkmcnt(0)
	s_barrier
	buffer_gl0_inv
	v_cmpx_gt_u32_e32 6, v0
	s_cbranch_execz .LBB16_6
; %bb.5:
	ds_load_b32 v8, v5 offset:5184
	s_waitcnt lgkmcnt(0)
	v_mov_b32_dpp v10, v8 row_shr:1 row_mask:0xf bank_mask:0xf
	v_and_b32_e32 v9, 7, v4
	s_delay_alu instid0(VALU_DEP_1) | instskip(NEXT) | instid1(VALU_DEP_3)
	v_cmp_ne_u32_e32 vcc_lo, 0, v9
	v_cndmask_b32_e32 v10, 0, v10, vcc_lo
	v_cmp_lt_u32_e32 vcc_lo, 1, v9
	s_delay_alu instid0(VALU_DEP_2) | instskip(NEXT) | instid1(VALU_DEP_1)
	v_add_nc_u32_e32 v8, v10, v8
	v_mov_b32_dpp v10, v8 row_shr:2 row_mask:0xf bank_mask:0xf
	s_delay_alu instid0(VALU_DEP_1) | instskip(SKIP_1) | instid1(VALU_DEP_2)
	v_cndmask_b32_e32 v10, 0, v10, vcc_lo
	v_cmp_lt_u32_e32 vcc_lo, 3, v9
	v_add_nc_u32_e32 v8, v8, v10
	s_delay_alu instid0(VALU_DEP_1) | instskip(NEXT) | instid1(VALU_DEP_1)
	v_mov_b32_dpp v10, v8 row_shr:4 row_mask:0xf bank_mask:0xf
	v_cndmask_b32_e32 v9, 0, v10, vcc_lo
	s_delay_alu instid0(VALU_DEP_1)
	v_add_nc_u32_e32 v8, v8, v9
	ds_store_b32 v5, v8 offset:5184
.LBB16_6:
	s_or_b32 exec_lo, exec_lo, s0
	v_cmp_lt_u32_e32 vcc_lo, 31, v0
	v_mov_b32_e32 v8, 0
	v_mov_b32_e32 v0, 0
	s_waitcnt lgkmcnt(0)
	s_barrier
	buffer_gl0_inv
	s_and_saveexec_b32 s0, vcc_lo
	s_cbranch_execz .LBB16_8
; %bb.7:
	ds_load_b32 v0, v7 offset:5180
.LBB16_8:
	s_or_b32 exec_lo, exec_lo, s0
	v_add_nc_u32_e32 v7, -1, v4
	s_add_u32 s0, s6, s2
	s_addc_u32 s1, s7, s3
	s_waitcnt lgkmcnt(0)
	v_add_nc_u32_e32 v6, v0, v6
	v_cmp_gt_i32_e32 vcc_lo, 0, v7
	v_cndmask_b32_e32 v7, v7, v4, vcc_lo
	v_cmp_eq_u32_e32 vcc_lo, 0, v4
	s_delay_alu instid0(VALU_DEP_2)
	v_lshlrev_b32_e32 v7, 2, v7
	ds_bpermute_b32 v9, v7, v6
	ds_load_b32 v10, v8 offset:5204
	ds_load_2addr_b32 v[6:7], v3 offset1:1
	s_waitcnt lgkmcnt(2)
	v_cndmask_b32_e32 v0, v9, v0, vcc_lo
	ds_load_2addr_b32 v[8:9], v3 offset0:2 offset1:3
	s_waitcnt lgkmcnt(2)
	v_lshl_add_u32 v0, v10, 16, v0
	ds_load_2addr_b32 v[10:11], v3 offset0:4 offset1:5
	ds_load_b32 v4, v3 offset:24
	s_waitcnt lgkmcnt(3)
	v_add_nc_u32_e32 v6, v0, v6
	s_delay_alu instid0(VALU_DEP_1) | instskip(SKIP_1) | instid1(VALU_DEP_1)
	v_add_nc_u32_e32 v7, v7, v6
	s_waitcnt lgkmcnt(2)
	v_add_nc_u32_e32 v8, v8, v7
	s_delay_alu instid0(VALU_DEP_1) | instskip(SKIP_1) | instid1(VALU_DEP_1)
	v_add_nc_u32_e32 v9, v9, v8
	;; [unrolled: 4-line block ×3, first 2 shown]
	s_waitcnt lgkmcnt(0)
	v_add_nc_u32_e32 v4, v4, v11
	ds_store_2addr_b32 v3, v0, v6 offset1:1
	ds_store_2addr_b32 v3, v7, v8 offset0:2 offset1:3
	ds_store_2addr_b32 v3, v9, v10 offset0:4 offset1:5
	ds_store_2addr_b32 v3, v11, v4 offset0:6 offset1:7
	s_waitcnt lgkmcnt(0)
	s_barrier
	buffer_gl0_inv
	ds_load_u16 v0, v1
	v_and_b32_e32 v1, 0xffff, v2
	s_waitcnt lgkmcnt(0)
	s_delay_alu instid0(VALU_DEP_1)
	v_add_nc_u32_e32 v0, v0, v1
	global_store_b32 v5, v0, s[0:1]
	s_nop 0
	s_sendmsg sendmsg(MSG_DEALLOC_VGPRS)
	s_endpgm
	.section	.rodata,"a",@progbits
	.p2align	6, 0x0
	.amdhsa_kernel _Z11rank_kernelILj162ELj1ELj4ELb0EL18RadixRankAlgorithm0EjEvPKT4_Pijj
		.amdhsa_group_segment_fixed_size 5216
		.amdhsa_private_segment_fixed_size 0
		.amdhsa_kernarg_size 24
		.amdhsa_user_sgpr_count 15
		.amdhsa_user_sgpr_dispatch_ptr 0
		.amdhsa_user_sgpr_queue_ptr 0
		.amdhsa_user_sgpr_kernarg_segment_ptr 1
		.amdhsa_user_sgpr_dispatch_id 0
		.amdhsa_user_sgpr_private_segment_size 0
		.amdhsa_wavefront_size32 1
		.amdhsa_uses_dynamic_stack 0
		.amdhsa_enable_private_segment 0
		.amdhsa_system_sgpr_workgroup_id_x 1
		.amdhsa_system_sgpr_workgroup_id_y 0
		.amdhsa_system_sgpr_workgroup_id_z 0
		.amdhsa_system_sgpr_workgroup_info 0
		.amdhsa_system_vgpr_workitem_id 0
		.amdhsa_next_free_vgpr 12
		.amdhsa_next_free_sgpr 16
		.amdhsa_reserve_vcc 1
		.amdhsa_float_round_mode_32 0
		.amdhsa_float_round_mode_16_64 0
		.amdhsa_float_denorm_mode_32 3
		.amdhsa_float_denorm_mode_16_64 3
		.amdhsa_dx10_clamp 1
		.amdhsa_ieee_mode 1
		.amdhsa_fp16_overflow 0
		.amdhsa_workgroup_processor_mode 1
		.amdhsa_memory_ordered 1
		.amdhsa_forward_progress 0
		.amdhsa_shared_vgpr_count 0
		.amdhsa_exception_fp_ieee_invalid_op 0
		.amdhsa_exception_fp_denorm_src 0
		.amdhsa_exception_fp_ieee_div_zero 0
		.amdhsa_exception_fp_ieee_overflow 0
		.amdhsa_exception_fp_ieee_underflow 0
		.amdhsa_exception_fp_ieee_inexact 0
		.amdhsa_exception_int_div_zero 0
	.end_amdhsa_kernel
	.section	.text._Z11rank_kernelILj162ELj1ELj4ELb0EL18RadixRankAlgorithm0EjEvPKT4_Pijj,"axG",@progbits,_Z11rank_kernelILj162ELj1ELj4ELb0EL18RadixRankAlgorithm0EjEvPKT4_Pijj,comdat
.Lfunc_end16:
	.size	_Z11rank_kernelILj162ELj1ELj4ELb0EL18RadixRankAlgorithm0EjEvPKT4_Pijj, .Lfunc_end16-_Z11rank_kernelILj162ELj1ELj4ELb0EL18RadixRankAlgorithm0EjEvPKT4_Pijj
                                        ; -- End function
	.section	.AMDGPU.csdata,"",@progbits
; Kernel info:
; codeLenInByte = 1004
; NumSgprs: 18
; NumVgprs: 12
; ScratchSize: 0
; MemoryBound: 0
; FloatMode: 240
; IeeeMode: 1
; LDSByteSize: 5216 bytes/workgroup (compile time only)
; SGPRBlocks: 2
; VGPRBlocks: 1
; NumSGPRsForWavesPerEU: 18
; NumVGPRsForWavesPerEU: 12
; Occupancy: 15
; WaveLimiterHint : 0
; COMPUTE_PGM_RSRC2:SCRATCH_EN: 0
; COMPUTE_PGM_RSRC2:USER_SGPR: 15
; COMPUTE_PGM_RSRC2:TRAP_HANDLER: 0
; COMPUTE_PGM_RSRC2:TGID_X_EN: 1
; COMPUTE_PGM_RSRC2:TGID_Y_EN: 0
; COMPUTE_PGM_RSRC2:TGID_Z_EN: 0
; COMPUTE_PGM_RSRC2:TIDIG_COMP_CNT: 0
	.section	.text._Z11rank_kernelILj510ELj1ELj4ELb1EL18RadixRankAlgorithm0ExEvPKT4_Pijj,"axG",@progbits,_Z11rank_kernelILj510ELj1ELj4ELb1EL18RadixRankAlgorithm0ExEvPKT4_Pijj,comdat
	.protected	_Z11rank_kernelILj510ELj1ELj4ELb1EL18RadixRankAlgorithm0ExEvPKT4_Pijj ; -- Begin function _Z11rank_kernelILj510ELj1ELj4ELb1EL18RadixRankAlgorithm0ExEvPKT4_Pijj
	.globl	_Z11rank_kernelILj510ELj1ELj4ELb1EL18RadixRankAlgorithm0ExEvPKT4_Pijj
	.p2align	8
	.type	_Z11rank_kernelILj510ELj1ELj4ELb1EL18RadixRankAlgorithm0ExEvPKT4_Pijj,@function
_Z11rank_kernelILj510ELj1ELj4ELb1EL18RadixRankAlgorithm0ExEvPKT4_Pijj: ; @_Z11rank_kernelILj510ELj1ELj4ELb1EL18RadixRankAlgorithm0ExEvPKT4_Pijj
; %bb.0:
	s_load_b128 s[4:7], s[0:1], 0x0
	s_mul_i32 s8, s15, 0x1fe
	s_mov_b32 s9, 0
	v_lshlrev_b32_e32 v1, 3, v0
	s_lshl_b64 s[2:3], s[8:9], 3
	v_dual_mov_b32 v3, 0 :: v_dual_lshlrev_b32 v4, 2, v0
	v_add_nc_u32_e32 v5, 0xfffffe02, v0
	s_waitcnt lgkmcnt(0)
	s_add_u32 s2, s4, s2
	s_addc_u32 s3, s5, s3
	global_load_b64 v[1:2], v1, s[2:3]
	s_mov_b32 s2, s9
.LBB17_1:                               ; =>This Inner Loop Header: Depth=1
	v_add_nc_u32_e32 v5, 0x1fe, v5
	ds_store_b32 v4, v3
	v_add_nc_u32_e32 v4, 0x7f8, v4
	v_cmp_lt_u32_e32 vcc_lo, 0xdf1, v5
	s_or_b32 s2, vcc_lo, s2
	s_delay_alu instid0(SALU_CYCLE_1)
	s_and_not1_b32 exec_lo, exec_lo, s2
	s_cbranch_execnz .LBB17_1
; %bb.2:
	s_or_b32 exec_lo, exec_lo, s2
	s_load_b64 s[0:1], s[0:1], 0x10
	s_waitcnt lgkmcnt(0)
	s_and_b32 s1, s1, 63
	s_delay_alu instid0(SALU_CYCLE_1)
	s_cmp_eq_u32 s1, 0
	s_cbranch_scc1 .LBB17_4
; %bb.3:
	s_and_b32 s0, s0, 63
	s_waitcnt vmcnt(0)
	v_xor_b32_e32 v2, 0x80000000, v2
	s_add_i32 s0, s0, s1
	s_delay_alu instid0(SALU_CYCLE_1)
	s_sub_i32 s0, 64, s0
	s_delay_alu instid0(VALU_DEP_1) | instid1(SALU_CYCLE_1)
	v_lshlrev_b64 v[1:2], s0, v[1:2]
	s_sub_i32 s0, 64, s1
	s_delay_alu instid0(VALU_DEP_1) | instid1(SALU_CYCLE_1)
	v_lshrrev_b64 v[1:2], s0, v[1:2]
	s_delay_alu instid0(VALU_DEP_1)
	v_xor_b32_e32 v1, 15, v1
	s_branch .LBB17_5
.LBB17_4:
	s_waitcnt vmcnt(0)
	v_mov_b32_e32 v1, 15
.LBB17_5:
	s_delay_alu instid0(VALU_DEP_1) | instskip(SKIP_2) | instid1(VALU_DEP_3)
	v_and_b32_e32 v2, 7, v1
	v_lshrrev_b32_e32 v1, 3, v1
	v_lshlrev_b32_e32 v3, 5, v0
	v_mul_u32_u24_e32 v2, 0x1fe, v2
	s_delay_alu instid0(VALU_DEP_1) | instskip(NEXT) | instid1(VALU_DEP_1)
	v_add_lshl_u32 v2, v2, v0, 1
	v_add_lshl_u32 v1, v2, v1, 1
	ds_load_u16 v2, v1
	s_waitcnt lgkmcnt(0)
	v_add_nc_u16 v4, v2, 1
	ds_store_b16 v1, v4
	s_waitcnt lgkmcnt(0)
	s_barrier
	buffer_gl0_inv
	ds_load_2addr_b32 v[4:5], v3 offset1:1
	ds_load_2addr_b32 v[6:7], v3 offset0:2 offset1:3
	ds_load_2addr_b32 v[8:9], v3 offset0:4 offset1:5
	;; [unrolled: 1-line block ×3, first 2 shown]
	s_waitcnt lgkmcnt(3)
	v_add_nc_u32_e32 v4, v5, v4
	s_waitcnt lgkmcnt(2)
	s_delay_alu instid0(VALU_DEP_1) | instskip(SKIP_1) | instid1(VALU_DEP_1)
	v_add3_u32 v4, v4, v6, v7
	s_waitcnt lgkmcnt(1)
	v_add3_u32 v5, v4, v8, v9
	v_mbcnt_lo_u32_b32 v4, -1, 0
	s_waitcnt lgkmcnt(0)
	s_delay_alu instid0(VALU_DEP_2) | instskip(NEXT) | instid1(VALU_DEP_2)
	v_add3_u32 v5, v5, v10, v11
	v_and_b32_e32 v6, 15, v4
	v_bfe_i32 v8, v4, 4, 1
	s_delay_alu instid0(VALU_DEP_3) | instskip(NEXT) | instid1(VALU_DEP_3)
	v_mov_b32_dpp v7, v5 row_shr:1 row_mask:0xf bank_mask:0xf
	v_cmp_eq_u32_e32 vcc_lo, 0, v6
	v_cmp_lt_u32_e64 s0, 1, v6
	v_cmp_lt_u32_e64 s1, 3, v6
	;; [unrolled: 1-line block ×3, first 2 shown]
	v_cndmask_b32_e64 v7, v7, 0, vcc_lo
	s_delay_alu instid0(VALU_DEP_1) | instskip(NEXT) | instid1(VALU_DEP_1)
	v_add_nc_u32_e32 v5, v7, v5
	v_mov_b32_dpp v7, v5 row_shr:2 row_mask:0xf bank_mask:0xf
	s_delay_alu instid0(VALU_DEP_1) | instskip(NEXT) | instid1(VALU_DEP_1)
	v_cndmask_b32_e64 v7, 0, v7, s0
	v_add_nc_u32_e32 v5, v5, v7
	s_delay_alu instid0(VALU_DEP_1) | instskip(NEXT) | instid1(VALU_DEP_1)
	v_mov_b32_dpp v7, v5 row_shr:4 row_mask:0xf bank_mask:0xf
	v_cndmask_b32_e64 v7, 0, v7, s1
	s_delay_alu instid0(VALU_DEP_1) | instskip(NEXT) | instid1(VALU_DEP_1)
	v_add_nc_u32_e32 v5, v5, v7
	v_mov_b32_dpp v7, v5 row_shr:8 row_mask:0xf bank_mask:0xf
	s_delay_alu instid0(VALU_DEP_1) | instskip(SKIP_1) | instid1(VALU_DEP_2)
	v_cndmask_b32_e64 v6, 0, v7, s2
	v_and_b32_e32 v7, 0x1e0, v0
	v_add_nc_u32_e32 v5, v5, v6
	s_delay_alu instid0(VALU_DEP_2) | instskip(SKIP_2) | instid1(VALU_DEP_1)
	v_min_u32_e32 v7, 0x1de, v7
	ds_swizzle_b32 v6, v5 offset:swizzle(BROADCAST,32,15)
	v_add_nc_u32_e32 v7, 31, v7
	v_cmp_eq_u32_e64 s3, v7, v0
	s_waitcnt lgkmcnt(0)
	v_and_b32_e32 v6, v8, v6
	v_lshrrev_b32_e32 v8, 5, v0
	s_delay_alu instid0(VALU_DEP_2) | instskip(NEXT) | instid1(VALU_DEP_2)
	v_add_nc_u32_e32 v6, v5, v6
	v_lshlrev_b32_e32 v7, 2, v8
	s_and_saveexec_b32 s4, s3
	s_cbranch_execz .LBB17_7
; %bb.6:
	ds_store_b32 v7, v6 offset:16320
.LBB17_7:
	s_or_b32 exec_lo, exec_lo, s4
	v_lshlrev_b32_e32 v5, 2, v0
	s_mov_b32 s4, exec_lo
	s_waitcnt lgkmcnt(0)
	s_barrier
	buffer_gl0_inv
	v_cmpx_gt_u32_e32 16, v0
	s_cbranch_execz .LBB17_9
; %bb.8:
	ds_load_b32 v8, v5 offset:16320
	s_waitcnt lgkmcnt(0)
	v_mov_b32_dpp v9, v8 row_shr:1 row_mask:0xf bank_mask:0xf
	s_delay_alu instid0(VALU_DEP_1) | instskip(NEXT) | instid1(VALU_DEP_1)
	v_cndmask_b32_e64 v9, v9, 0, vcc_lo
	v_add_nc_u32_e32 v8, v9, v8
	s_delay_alu instid0(VALU_DEP_1) | instskip(NEXT) | instid1(VALU_DEP_1)
	v_mov_b32_dpp v9, v8 row_shr:2 row_mask:0xf bank_mask:0xf
	v_cndmask_b32_e64 v9, 0, v9, s0
	s_delay_alu instid0(VALU_DEP_1) | instskip(NEXT) | instid1(VALU_DEP_1)
	v_add_nc_u32_e32 v8, v8, v9
	v_mov_b32_dpp v9, v8 row_shr:4 row_mask:0xf bank_mask:0xf
	s_delay_alu instid0(VALU_DEP_1) | instskip(NEXT) | instid1(VALU_DEP_1)
	v_cndmask_b32_e64 v9, 0, v9, s1
	v_add_nc_u32_e32 v8, v8, v9
	s_delay_alu instid0(VALU_DEP_1) | instskip(NEXT) | instid1(VALU_DEP_1)
	v_mov_b32_dpp v9, v8 row_shr:8 row_mask:0xf bank_mask:0xf
	v_cndmask_b32_e64 v9, 0, v9, s2
	s_delay_alu instid0(VALU_DEP_1)
	v_add_nc_u32_e32 v8, v8, v9
	ds_store_b32 v5, v8 offset:16320
.LBB17_9:
	s_or_b32 exec_lo, exec_lo, s4
	v_cmp_lt_u32_e32 vcc_lo, 31, v0
	v_mov_b32_e32 v8, 0
	v_mov_b32_e32 v0, 0
	s_waitcnt lgkmcnt(0)
	s_barrier
	buffer_gl0_inv
	s_and_saveexec_b32 s0, vcc_lo
	s_cbranch_execz .LBB17_11
; %bb.10:
	ds_load_b32 v0, v7 offset:16316
.LBB17_11:
	s_or_b32 exec_lo, exec_lo, s0
	v_add_nc_u32_e32 v7, -1, v4
	s_lshl_b64 s[0:1], s[8:9], 2
	s_waitcnt lgkmcnt(0)
	v_add_nc_u32_e32 v6, v0, v6
	s_add_u32 s0, s6, s0
	s_addc_u32 s1, s7, s1
	v_cmp_gt_i32_e32 vcc_lo, 0, v7
	v_cndmask_b32_e32 v7, v7, v4, vcc_lo
	v_cmp_eq_u32_e32 vcc_lo, 0, v4
	s_delay_alu instid0(VALU_DEP_2)
	v_lshlrev_b32_e32 v7, 2, v7
	ds_bpermute_b32 v9, v7, v6
	ds_load_b32 v10, v8 offset:16380
	ds_load_2addr_b32 v[6:7], v3 offset1:1
	s_waitcnt lgkmcnt(2)
	v_cndmask_b32_e32 v0, v9, v0, vcc_lo
	ds_load_2addr_b32 v[8:9], v3 offset0:2 offset1:3
	s_waitcnt lgkmcnt(2)
	v_lshl_add_u32 v0, v10, 16, v0
	ds_load_2addr_b32 v[10:11], v3 offset0:4 offset1:5
	ds_load_b32 v4, v3 offset:24
	s_waitcnt lgkmcnt(3)
	v_add_nc_u32_e32 v6, v0, v6
	s_delay_alu instid0(VALU_DEP_1) | instskip(SKIP_1) | instid1(VALU_DEP_1)
	v_add_nc_u32_e32 v7, v7, v6
	s_waitcnt lgkmcnt(2)
	v_add_nc_u32_e32 v8, v8, v7
	s_delay_alu instid0(VALU_DEP_1) | instskip(SKIP_1) | instid1(VALU_DEP_1)
	v_add_nc_u32_e32 v9, v9, v8
	;; [unrolled: 4-line block ×3, first 2 shown]
	s_waitcnt lgkmcnt(0)
	v_add_nc_u32_e32 v4, v4, v11
	ds_store_2addr_b32 v3, v0, v6 offset1:1
	ds_store_2addr_b32 v3, v7, v8 offset0:2 offset1:3
	ds_store_2addr_b32 v3, v9, v10 offset0:4 offset1:5
	;; [unrolled: 1-line block ×3, first 2 shown]
	s_waitcnt lgkmcnt(0)
	s_barrier
	buffer_gl0_inv
	ds_load_u16 v0, v1
	v_and_b32_e32 v1, 0xffff, v2
	s_waitcnt lgkmcnt(0)
	s_delay_alu instid0(VALU_DEP_1)
	v_add_nc_u32_e32 v0, v0, v1
	global_store_b32 v5, v0, s[0:1]
	s_nop 0
	s_sendmsg sendmsg(MSG_DEALLOC_VGPRS)
	s_endpgm
	.section	.rodata,"a",@progbits
	.p2align	6, 0x0
	.amdhsa_kernel _Z11rank_kernelILj510ELj1ELj4ELb1EL18RadixRankAlgorithm0ExEvPKT4_Pijj
		.amdhsa_group_segment_fixed_size 16384
		.amdhsa_private_segment_fixed_size 0
		.amdhsa_kernarg_size 24
		.amdhsa_user_sgpr_count 15
		.amdhsa_user_sgpr_dispatch_ptr 0
		.amdhsa_user_sgpr_queue_ptr 0
		.amdhsa_user_sgpr_kernarg_segment_ptr 1
		.amdhsa_user_sgpr_dispatch_id 0
		.amdhsa_user_sgpr_private_segment_size 0
		.amdhsa_wavefront_size32 1
		.amdhsa_uses_dynamic_stack 0
		.amdhsa_enable_private_segment 0
		.amdhsa_system_sgpr_workgroup_id_x 1
		.amdhsa_system_sgpr_workgroup_id_y 0
		.amdhsa_system_sgpr_workgroup_id_z 0
		.amdhsa_system_sgpr_workgroup_info 0
		.amdhsa_system_vgpr_workitem_id 0
		.amdhsa_next_free_vgpr 12
		.amdhsa_next_free_sgpr 16
		.amdhsa_reserve_vcc 1
		.amdhsa_float_round_mode_32 0
		.amdhsa_float_round_mode_16_64 0
		.amdhsa_float_denorm_mode_32 3
		.amdhsa_float_denorm_mode_16_64 3
		.amdhsa_dx10_clamp 1
		.amdhsa_ieee_mode 1
		.amdhsa_fp16_overflow 0
		.amdhsa_workgroup_processor_mode 1
		.amdhsa_memory_ordered 1
		.amdhsa_forward_progress 0
		.amdhsa_shared_vgpr_count 0
		.amdhsa_exception_fp_ieee_invalid_op 0
		.amdhsa_exception_fp_denorm_src 0
		.amdhsa_exception_fp_ieee_div_zero 0
		.amdhsa_exception_fp_ieee_overflow 0
		.amdhsa_exception_fp_ieee_underflow 0
		.amdhsa_exception_fp_ieee_inexact 0
		.amdhsa_exception_int_div_zero 0
	.end_amdhsa_kernel
	.section	.text._Z11rank_kernelILj510ELj1ELj4ELb1EL18RadixRankAlgorithm0ExEvPKT4_Pijj,"axG",@progbits,_Z11rank_kernelILj510ELj1ELj4ELb1EL18RadixRankAlgorithm0ExEvPKT4_Pijj,comdat
.Lfunc_end17:
	.size	_Z11rank_kernelILj510ELj1ELj4ELb1EL18RadixRankAlgorithm0ExEvPKT4_Pijj, .Lfunc_end17-_Z11rank_kernelILj510ELj1ELj4ELb1EL18RadixRankAlgorithm0ExEvPKT4_Pijj
                                        ; -- End function
	.section	.AMDGPU.csdata,"",@progbits
; Kernel info:
; codeLenInByte = 1104
; NumSgprs: 18
; NumVgprs: 12
; ScratchSize: 0
; MemoryBound: 0
; FloatMode: 240
; IeeeMode: 1
; LDSByteSize: 16384 bytes/workgroup (compile time only)
; SGPRBlocks: 2
; VGPRBlocks: 1
; NumSGPRsForWavesPerEU: 18
; NumVGPRsForWavesPerEU: 12
; Occupancy: 16
; WaveLimiterHint : 0
; COMPUTE_PGM_RSRC2:SCRATCH_EN: 0
; COMPUTE_PGM_RSRC2:USER_SGPR: 15
; COMPUTE_PGM_RSRC2:TRAP_HANDLER: 0
; COMPUTE_PGM_RSRC2:TGID_X_EN: 1
; COMPUTE_PGM_RSRC2:TGID_Y_EN: 0
; COMPUTE_PGM_RSRC2:TGID_Z_EN: 0
; COMPUTE_PGM_RSRC2:TIDIG_COMP_CNT: 0
	.section	.text._Z11rank_kernelILj37ELj1ELj4ELb0EL18RadixRankAlgorithm0EfEvPKT4_Pijj,"axG",@progbits,_Z11rank_kernelILj37ELj1ELj4ELb0EL18RadixRankAlgorithm0EfEvPKT4_Pijj,comdat
	.protected	_Z11rank_kernelILj37ELj1ELj4ELb0EL18RadixRankAlgorithm0EfEvPKT4_Pijj ; -- Begin function _Z11rank_kernelILj37ELj1ELj4ELb0EL18RadixRankAlgorithm0EfEvPKT4_Pijj
	.globl	_Z11rank_kernelILj37ELj1ELj4ELb0EL18RadixRankAlgorithm0EfEvPKT4_Pijj
	.p2align	8
	.type	_Z11rank_kernelILj37ELj1ELj4ELb0EL18RadixRankAlgorithm0EfEvPKT4_Pijj,@function
_Z11rank_kernelILj37ELj1ELj4ELb0EL18RadixRankAlgorithm0EfEvPKT4_Pijj: ; @_Z11rank_kernelILj37ELj1ELj4ELb0EL18RadixRankAlgorithm0EfEvPKT4_Pijj
; %bb.0:
	s_load_b128 s[4:7], s[0:1], 0x0
	s_mul_i32 s8, s15, 37
	s_mov_b32 s9, 0
	v_lshlrev_b32_e32 v1, 2, v0
	s_lshl_b64 s[2:3], s[8:9], 2
	s_waitcnt lgkmcnt(0)
	s_add_u32 s4, s4, s2
	s_addc_u32 s5, s5, s3
	global_load_b32 v2, v1, s[4:5]
	s_mov_b32 s4, exec_lo
	v_cmpx_gt_u32_e32 0x128, v0
	s_cbranch_execz .LBB18_3
; %bb.1:
	v_subrev_nc_u32_e32 v3, 37, v0
	v_dual_mov_b32 v4, 0 :: v_dual_mov_b32 v5, v1
.LBB18_2:                               ; =>This Inner Loop Header: Depth=1
	s_delay_alu instid0(VALU_DEP_2) | instskip(SKIP_4) | instid1(SALU_CYCLE_1)
	v_add_nc_u32_e32 v3, 37, v3
	ds_store_b32 v5, v4
	v_add_nc_u32_e32 v5, 0x94, v5
	v_cmp_lt_u32_e32 vcc_lo, 0x102, v3
	s_or_b32 s9, vcc_lo, s9
	s_and_not1_b32 exec_lo, exec_lo, s9
	s_cbranch_execnz .LBB18_2
.LBB18_3:
	s_or_b32 exec_lo, exec_lo, s4
	s_load_b64 s[0:1], s[0:1], 0x10
	s_waitcnt vmcnt(0)
	v_cmp_lt_i32_e32 vcc_lo, -1, v2
	v_lshlrev_b32_e32 v4, 5, v0
	v_cndmask_b32_e64 v3, -1, 0x80000000, vcc_lo
	s_delay_alu instid0(VALU_DEP_1) | instskip(NEXT) | instid1(VALU_DEP_1)
	v_xor_b32_e32 v2, v3, v2
	v_cmp_ne_u32_e32 vcc_lo, 0x7fffffff, v2
	s_waitcnt lgkmcnt(0)
	s_and_b32 s1, s1, 31
	s_and_b32 s0, s0, 31
	v_cndmask_b32_e32 v2, 0x80000000, v2, vcc_lo
	s_add_i32 s0, s0, s1
	s_delay_alu instid0(SALU_CYCLE_1)
	s_sub_i32 s0, 32, s0
	s_delay_alu instid0(VALU_DEP_1) | instid1(SALU_CYCLE_1)
	v_lshlrev_b32_e32 v2, s0, v2
	s_sub_i32 s0, 32, s1
	s_cmp_lg_u32 s1, 0
	s_cselect_b32 vcc_lo, -1, 0
	s_delay_alu instid0(VALU_DEP_1) | instskip(SKIP_1) | instid1(VALU_DEP_1)
	v_lshrrev_b32_e32 v2, s0, v2
	s_mov_b32 s0, exec_lo
	v_cndmask_b32_e32 v2, 0, v2, vcc_lo
	s_delay_alu instid0(VALU_DEP_1) | instskip(SKIP_1) | instid1(VALU_DEP_2)
	v_and_b32_e32 v3, 7, v2
	v_lshrrev_b32_e32 v2, 3, v2
	v_mul_u32_u24_e32 v3, 37, v3
	s_delay_alu instid0(VALU_DEP_1) | instskip(NEXT) | instid1(VALU_DEP_1)
	v_add_lshl_u32 v3, v3, v0, 1
	v_add_lshl_u32 v2, v3, v2, 1
	ds_load_u16 v3, v2
	s_waitcnt lgkmcnt(0)
	v_add_nc_u16 v5, v3, 1
	ds_store_b16 v2, v5
	s_waitcnt lgkmcnt(0)
	s_barrier
	buffer_gl0_inv
	ds_load_2addr_b32 v[5:6], v4 offset1:1
	ds_load_2addr_b32 v[7:8], v4 offset0:2 offset1:3
	ds_load_2addr_b32 v[9:10], v4 offset0:4 offset1:5
	;; [unrolled: 1-line block ×3, first 2 shown]
	s_waitcnt lgkmcnt(3)
	v_add_nc_u32_e32 v5, v6, v5
	s_waitcnt lgkmcnt(2)
	s_delay_alu instid0(VALU_DEP_1) | instskip(SKIP_1) | instid1(VALU_DEP_1)
	v_add3_u32 v5, v5, v7, v8
	s_waitcnt lgkmcnt(1)
	v_add3_u32 v6, v5, v9, v10
	v_mbcnt_lo_u32_b32 v5, -1, 0
	s_waitcnt lgkmcnt(0)
	s_delay_alu instid0(VALU_DEP_2) | instskip(NEXT) | instid1(VALU_DEP_2)
	v_add3_u32 v6, v6, v11, v12
	v_and_b32_e32 v7, 15, v5
	v_bfe_i32 v9, v5, 4, 1
	s_delay_alu instid0(VALU_DEP_3) | instskip(NEXT) | instid1(VALU_DEP_3)
	v_mov_b32_dpp v8, v6 row_shr:1 row_mask:0xf bank_mask:0xf
	v_cmp_ne_u32_e32 vcc_lo, 0, v7
	s_delay_alu instid0(VALU_DEP_2) | instskip(SKIP_1) | instid1(VALU_DEP_2)
	v_cndmask_b32_e32 v8, 0, v8, vcc_lo
	v_cmp_lt_u32_e32 vcc_lo, 1, v7
	v_add_nc_u32_e32 v6, v8, v6
	s_delay_alu instid0(VALU_DEP_1) | instskip(NEXT) | instid1(VALU_DEP_1)
	v_mov_b32_dpp v8, v6 row_shr:2 row_mask:0xf bank_mask:0xf
	v_cndmask_b32_e32 v8, 0, v8, vcc_lo
	v_cmp_lt_u32_e32 vcc_lo, 3, v7
	s_delay_alu instid0(VALU_DEP_2) | instskip(NEXT) | instid1(VALU_DEP_1)
	v_add_nc_u32_e32 v6, v6, v8
	v_mov_b32_dpp v8, v6 row_shr:4 row_mask:0xf bank_mask:0xf
	s_delay_alu instid0(VALU_DEP_1) | instskip(SKIP_1) | instid1(VALU_DEP_2)
	v_cndmask_b32_e32 v8, 0, v8, vcc_lo
	v_cmp_lt_u32_e32 vcc_lo, 7, v7
	v_add_nc_u32_e32 v6, v6, v8
	s_delay_alu instid0(VALU_DEP_1) | instskip(NEXT) | instid1(VALU_DEP_1)
	v_mov_b32_dpp v8, v6 row_shr:8 row_mask:0xf bank_mask:0xf
	v_cndmask_b32_e32 v7, 0, v8, vcc_lo
	v_and_b32_e32 v8, 32, v0
	s_delay_alu instid0(VALU_DEP_2) | instskip(NEXT) | instid1(VALU_DEP_2)
	v_add_nc_u32_e32 v6, v6, v7
	v_min_u32_e32 v8, 5, v8
	ds_swizzle_b32 v7, v6 offset:swizzle(BROADCAST,32,15)
	v_add_nc_u32_e32 v8, 31, v8
	s_waitcnt lgkmcnt(0)
	v_and_b32_e32 v7, v9, v7
	v_lshrrev_b32_e32 v9, 5, v0
	s_delay_alu instid0(VALU_DEP_2) | instskip(NEXT) | instid1(VALU_DEP_2)
	v_add_nc_u32_e32 v6, v6, v7
	v_lshlrev_b32_e32 v7, 2, v9
	v_cmpx_eq_u32_e64 v8, v0
	s_cbranch_execz .LBB18_5
; %bb.4:
	ds_store_b32 v7, v6 offset:1184
.LBB18_5:
	s_or_b32 exec_lo, exec_lo, s0
	s_delay_alu instid0(SALU_CYCLE_1)
	s_mov_b32 s0, exec_lo
	s_waitcnt lgkmcnt(0)
	s_barrier
	buffer_gl0_inv
	v_cmpx_gt_u32_e32 2, v0
	s_cbranch_execz .LBB18_7
; %bb.6:
	ds_load_b32 v8, v1 offset:1184
	v_bfe_i32 v9, v5, 0, 1
	s_waitcnt lgkmcnt(0)
	v_mov_b32_dpp v10, v8 row_shr:1 row_mask:0xf bank_mask:0xf
	s_delay_alu instid0(VALU_DEP_1) | instskip(NEXT) | instid1(VALU_DEP_1)
	v_and_b32_e32 v9, v9, v10
	v_add_nc_u32_e32 v8, v9, v8
	ds_store_b32 v1, v8 offset:1184
.LBB18_7:
	s_or_b32 exec_lo, exec_lo, s0
	v_cmp_lt_u32_e32 vcc_lo, 31, v0
	v_mov_b32_e32 v8, 0
	v_mov_b32_e32 v0, 0
	s_waitcnt lgkmcnt(0)
	s_barrier
	buffer_gl0_inv
	s_and_saveexec_b32 s0, vcc_lo
	s_cbranch_execz .LBB18_9
; %bb.8:
	ds_load_b32 v0, v7 offset:1180
.LBB18_9:
	s_or_b32 exec_lo, exec_lo, s0
	v_add_nc_u32_e32 v7, -1, v5
	s_add_u32 s0, s6, s2
	s_addc_u32 s1, s7, s3
	s_waitcnt lgkmcnt(0)
	v_add_nc_u32_e32 v6, v0, v6
	v_cmp_gt_i32_e32 vcc_lo, 0, v7
	v_cndmask_b32_e32 v7, v7, v5, vcc_lo
	v_cmp_eq_u32_e32 vcc_lo, 0, v5
	s_delay_alu instid0(VALU_DEP_2)
	v_lshlrev_b32_e32 v7, 2, v7
	ds_bpermute_b32 v9, v7, v6
	ds_load_b32 v10, v8 offset:1188
	ds_load_2addr_b32 v[6:7], v4 offset1:1
	s_waitcnt lgkmcnt(2)
	v_cndmask_b32_e32 v0, v9, v0, vcc_lo
	ds_load_2addr_b32 v[8:9], v4 offset0:2 offset1:3
	s_waitcnt lgkmcnt(2)
	v_lshl_add_u32 v0, v10, 16, v0
	ds_load_2addr_b32 v[10:11], v4 offset0:4 offset1:5
	ds_load_b32 v5, v4 offset:24
	s_waitcnt lgkmcnt(3)
	v_add_nc_u32_e32 v6, v0, v6
	s_delay_alu instid0(VALU_DEP_1) | instskip(SKIP_1) | instid1(VALU_DEP_1)
	v_add_nc_u32_e32 v7, v7, v6
	s_waitcnt lgkmcnt(2)
	v_add_nc_u32_e32 v8, v8, v7
	s_delay_alu instid0(VALU_DEP_1) | instskip(SKIP_1) | instid1(VALU_DEP_1)
	v_add_nc_u32_e32 v9, v9, v8
	;; [unrolled: 4-line block ×3, first 2 shown]
	s_waitcnt lgkmcnt(0)
	v_add_nc_u32_e32 v5, v5, v11
	ds_store_2addr_b32 v4, v0, v6 offset1:1
	ds_store_2addr_b32 v4, v7, v8 offset0:2 offset1:3
	ds_store_2addr_b32 v4, v9, v10 offset0:4 offset1:5
	;; [unrolled: 1-line block ×3, first 2 shown]
	s_waitcnt lgkmcnt(0)
	s_barrier
	buffer_gl0_inv
	ds_load_u16 v0, v2
	v_and_b32_e32 v2, 0xffff, v3
	s_waitcnt lgkmcnt(0)
	s_delay_alu instid0(VALU_DEP_1)
	v_add_nc_u32_e32 v0, v0, v2
	global_store_b32 v1, v0, s[0:1]
	s_nop 0
	s_sendmsg sendmsg(MSG_DEALLOC_VGPRS)
	s_endpgm
	.section	.rodata,"a",@progbits
	.p2align	6, 0x0
	.amdhsa_kernel _Z11rank_kernelILj37ELj1ELj4ELb0EL18RadixRankAlgorithm0EfEvPKT4_Pijj
		.amdhsa_group_segment_fixed_size 1200
		.amdhsa_private_segment_fixed_size 0
		.amdhsa_kernarg_size 24
		.amdhsa_user_sgpr_count 15
		.amdhsa_user_sgpr_dispatch_ptr 0
		.amdhsa_user_sgpr_queue_ptr 0
		.amdhsa_user_sgpr_kernarg_segment_ptr 1
		.amdhsa_user_sgpr_dispatch_id 0
		.amdhsa_user_sgpr_private_segment_size 0
		.amdhsa_wavefront_size32 1
		.amdhsa_uses_dynamic_stack 0
		.amdhsa_enable_private_segment 0
		.amdhsa_system_sgpr_workgroup_id_x 1
		.amdhsa_system_sgpr_workgroup_id_y 0
		.amdhsa_system_sgpr_workgroup_id_z 0
		.amdhsa_system_sgpr_workgroup_info 0
		.amdhsa_system_vgpr_workitem_id 0
		.amdhsa_next_free_vgpr 13
		.amdhsa_next_free_sgpr 16
		.amdhsa_reserve_vcc 1
		.amdhsa_float_round_mode_32 0
		.amdhsa_float_round_mode_16_64 0
		.amdhsa_float_denorm_mode_32 3
		.amdhsa_float_denorm_mode_16_64 3
		.amdhsa_dx10_clamp 1
		.amdhsa_ieee_mode 1
		.amdhsa_fp16_overflow 0
		.amdhsa_workgroup_processor_mode 1
		.amdhsa_memory_ordered 1
		.amdhsa_forward_progress 0
		.amdhsa_shared_vgpr_count 0
		.amdhsa_exception_fp_ieee_invalid_op 0
		.amdhsa_exception_fp_denorm_src 0
		.amdhsa_exception_fp_ieee_div_zero 0
		.amdhsa_exception_fp_ieee_overflow 0
		.amdhsa_exception_fp_ieee_underflow 0
		.amdhsa_exception_fp_ieee_inexact 0
		.amdhsa_exception_int_div_zero 0
	.end_amdhsa_kernel
	.section	.text._Z11rank_kernelILj37ELj1ELj4ELb0EL18RadixRankAlgorithm0EfEvPKT4_Pijj,"axG",@progbits,_Z11rank_kernelILj37ELj1ELj4ELb0EL18RadixRankAlgorithm0EfEvPKT4_Pijj,comdat
.Lfunc_end18:
	.size	_Z11rank_kernelILj37ELj1ELj4ELb0EL18RadixRankAlgorithm0EfEvPKT4_Pijj, .Lfunc_end18-_Z11rank_kernelILj37ELj1ELj4ELb0EL18RadixRankAlgorithm0EfEvPKT4_Pijj
                                        ; -- End function
	.section	.AMDGPU.csdata,"",@progbits
; Kernel info:
; codeLenInByte = 988
; NumSgprs: 18
; NumVgprs: 13
; ScratchSize: 0
; MemoryBound: 0
; FloatMode: 240
; IeeeMode: 1
; LDSByteSize: 1200 bytes/workgroup (compile time only)
; SGPRBlocks: 2
; VGPRBlocks: 1
; NumSGPRsForWavesPerEU: 18
; NumVGPRsForWavesPerEU: 13
; Occupancy: 16
; WaveLimiterHint : 0
; COMPUTE_PGM_RSRC2:SCRATCH_EN: 0
; COMPUTE_PGM_RSRC2:USER_SGPR: 15
; COMPUTE_PGM_RSRC2:TRAP_HANDLER: 0
; COMPUTE_PGM_RSRC2:TGID_X_EN: 1
; COMPUTE_PGM_RSRC2:TGID_Y_EN: 0
; COMPUTE_PGM_RSRC2:TGID_Z_EN: 0
; COMPUTE_PGM_RSRC2:TIDIG_COMP_CNT: 0
	.section	.text._Z11rank_kernelILj65ELj1ELj4ELb0EL18RadixRankAlgorithm0EdEvPKT4_Pijj,"axG",@progbits,_Z11rank_kernelILj65ELj1ELj4ELb0EL18RadixRankAlgorithm0EdEvPKT4_Pijj,comdat
	.protected	_Z11rank_kernelILj65ELj1ELj4ELb0EL18RadixRankAlgorithm0EdEvPKT4_Pijj ; -- Begin function _Z11rank_kernelILj65ELj1ELj4ELb0EL18RadixRankAlgorithm0EdEvPKT4_Pijj
	.globl	_Z11rank_kernelILj65ELj1ELj4ELb0EL18RadixRankAlgorithm0EdEvPKT4_Pijj
	.p2align	8
	.type	_Z11rank_kernelILj65ELj1ELj4ELb0EL18RadixRankAlgorithm0EdEvPKT4_Pijj,@function
_Z11rank_kernelILj65ELj1ELj4ELb0EL18RadixRankAlgorithm0EdEvPKT4_Pijj: ; @_Z11rank_kernelILj65ELj1ELj4ELb0EL18RadixRankAlgorithm0EdEvPKT4_Pijj
; %bb.0:
	s_load_b128 s[4:7], s[0:1], 0x0
	s_mul_i32 s2, s15, 0x41
	s_mov_b32 s3, 0
	v_lshlrev_b32_e32 v1, 3, v0
	s_lshl_b64 s[8:9], s[2:3], 3
	v_lshlrev_b32_e32 v5, 2, v0
	s_waitcnt lgkmcnt(0)
	s_add_u32 s4, s4, s8
	s_addc_u32 s5, s5, s9
	global_load_b64 v[1:2], v1, s[4:5]
	s_mov_b32 s4, exec_lo
	v_cmpx_gt_u32_e32 0x208, v0
	s_cbranch_execz .LBB19_3
; %bb.1:
	v_dual_mov_b32 v4, 0 :: v_dual_add_nc_u32 v3, 0xffffffbf, v0
	v_mov_b32_e32 v6, v5
	s_mov_b32 s5, s3
.LBB19_2:                               ; =>This Inner Loop Header: Depth=1
	s_delay_alu instid0(VALU_DEP_2) | instskip(SKIP_4) | instid1(SALU_CYCLE_1)
	v_add_nc_u32_e32 v3, 0x41, v3
	ds_store_b32 v6, v4
	v_add_nc_u32_e32 v6, 0x104, v6
	v_cmp_lt_u32_e32 vcc_lo, 0x1c6, v3
	s_or_b32 s5, vcc_lo, s5
	s_and_not1_b32 exec_lo, exec_lo, s5
	s_cbranch_execnz .LBB19_2
.LBB19_3:
	s_or_b32 exec_lo, exec_lo, s4
	s_load_b64 s[0:1], s[0:1], 0x10
	v_mov_b32_e32 v3, 0
	s_waitcnt lgkmcnt(0)
	s_and_b32 s1, s1, 63
	s_delay_alu instid0(SALU_CYCLE_1)
	s_cmp_eq_u32 s1, 0
	s_cbranch_scc1 .LBB19_5
; %bb.4:
	s_waitcnt vmcnt(0)
	v_cmp_lt_i64_e32 vcc_lo, -1, v[1:2]
	v_ashrrev_i32_e32 v4, 31, v2
	s_mov_b32 s4, -1
	s_brev_b32 s5, -2
	s_and_b32 s0, s0, 63
	s_delay_alu instid0(VALU_DEP_1) | instskip(SKIP_2) | instid1(SALU_CYCLE_1)
	v_xor_b32_e32 v1, v4, v1
	v_cndmask_b32_e64 v3, -1, 0x80000000, vcc_lo
	s_add_i32 s0, s0, s1
	s_sub_i32 s0, 64, s0
	s_delay_alu instid0(VALU_DEP_1) | instskip(NEXT) | instid1(VALU_DEP_1)
	v_xor_b32_e32 v2, v3, v2
	v_cmp_ne_u64_e32 vcc_lo, s[4:5], v[1:2]
	v_cndmask_b32_e32 v2, 0x80000000, v2, vcc_lo
	v_cndmask_b32_e32 v1, 0, v1, vcc_lo
	s_delay_alu instid0(VALU_DEP_1)
	v_lshlrev_b64 v[1:2], s0, v[1:2]
	s_sub_i32 s0, 64, s1
	s_delay_alu instid0(VALU_DEP_1) | instid1(SALU_CYCLE_1)
	v_lshrrev_b64 v[3:4], s0, v[1:2]
.LBB19_5:
	s_waitcnt vmcnt(0)
	s_delay_alu instid0(VALU_DEP_1) | instskip(SKIP_3) | instid1(VALU_DEP_3)
	v_and_b32_e32 v1, 7, v3
	v_lshrrev_b32_e32 v2, 3, v3
	v_lshlrev_b32_e32 v3, 5, v0
	s_mov_b32 s0, exec_lo
	v_mul_u32_u24_e32 v1, 0x41, v1
	s_delay_alu instid0(VALU_DEP_1) | instskip(NEXT) | instid1(VALU_DEP_1)
	v_add_lshl_u32 v1, v1, v0, 1
	v_add_lshl_u32 v1, v1, v2, 1
	ds_load_u16 v2, v1
	s_waitcnt lgkmcnt(0)
	v_add_nc_u16 v4, v2, 1
	ds_store_b16 v1, v4
	s_waitcnt lgkmcnt(0)
	s_barrier
	buffer_gl0_inv
	ds_load_2addr_b32 v[6:7], v3 offset1:1
	ds_load_2addr_b32 v[8:9], v3 offset0:2 offset1:3
	ds_load_2addr_b32 v[10:11], v3 offset0:4 offset1:5
	;; [unrolled: 1-line block ×3, first 2 shown]
	s_waitcnt lgkmcnt(3)
	v_add_nc_u32_e32 v4, v7, v6
	s_waitcnt lgkmcnt(2)
	s_delay_alu instid0(VALU_DEP_1) | instskip(SKIP_1) | instid1(VALU_DEP_1)
	v_add3_u32 v4, v4, v8, v9
	s_waitcnt lgkmcnt(1)
	v_add3_u32 v6, v4, v10, v11
	v_mbcnt_lo_u32_b32 v4, -1, 0
	s_waitcnt lgkmcnt(0)
	s_delay_alu instid0(VALU_DEP_2) | instskip(NEXT) | instid1(VALU_DEP_2)
	v_add3_u32 v6, v6, v12, v13
	v_and_b32_e32 v7, 15, v4
	v_bfe_i32 v9, v4, 4, 1
	s_delay_alu instid0(VALU_DEP_3) | instskip(NEXT) | instid1(VALU_DEP_3)
	v_mov_b32_dpp v8, v6 row_shr:1 row_mask:0xf bank_mask:0xf
	v_cmp_ne_u32_e32 vcc_lo, 0, v7
	s_delay_alu instid0(VALU_DEP_2) | instskip(SKIP_1) | instid1(VALU_DEP_2)
	v_cndmask_b32_e32 v8, 0, v8, vcc_lo
	v_cmp_lt_u32_e32 vcc_lo, 1, v7
	v_add_nc_u32_e32 v6, v8, v6
	s_delay_alu instid0(VALU_DEP_1) | instskip(NEXT) | instid1(VALU_DEP_1)
	v_mov_b32_dpp v8, v6 row_shr:2 row_mask:0xf bank_mask:0xf
	v_cndmask_b32_e32 v8, 0, v8, vcc_lo
	v_cmp_lt_u32_e32 vcc_lo, 3, v7
	s_delay_alu instid0(VALU_DEP_2) | instskip(NEXT) | instid1(VALU_DEP_1)
	v_add_nc_u32_e32 v6, v6, v8
	v_mov_b32_dpp v8, v6 row_shr:4 row_mask:0xf bank_mask:0xf
	s_delay_alu instid0(VALU_DEP_1) | instskip(SKIP_1) | instid1(VALU_DEP_2)
	v_cndmask_b32_e32 v8, 0, v8, vcc_lo
	v_cmp_lt_u32_e32 vcc_lo, 7, v7
	v_add_nc_u32_e32 v6, v6, v8
	s_delay_alu instid0(VALU_DEP_1) | instskip(NEXT) | instid1(VALU_DEP_1)
	v_mov_b32_dpp v8, v6 row_shr:8 row_mask:0xf bank_mask:0xf
	v_cndmask_b32_e32 v7, 0, v8, vcc_lo
	v_and_b32_e32 v8, 0x60, v0
	s_delay_alu instid0(VALU_DEP_2) | instskip(NEXT) | instid1(VALU_DEP_2)
	v_add_nc_u32_e32 v6, v6, v7
	v_min_u32_e32 v8, 33, v8
	ds_swizzle_b32 v7, v6 offset:swizzle(BROADCAST,32,15)
	v_add_nc_u32_e32 v8, 31, v8
	s_waitcnt lgkmcnt(0)
	v_and_b32_e32 v7, v9, v7
	v_lshrrev_b32_e32 v9, 5, v0
	s_delay_alu instid0(VALU_DEP_2) | instskip(NEXT) | instid1(VALU_DEP_2)
	v_add_nc_u32_e32 v6, v6, v7
	v_lshlrev_b32_e32 v7, 2, v9
	v_cmpx_eq_u32_e64 v8, v0
	s_cbranch_execz .LBB19_7
; %bb.6:
	ds_store_b32 v7, v6 offset:2080
.LBB19_7:
	s_or_b32 exec_lo, exec_lo, s0
	s_delay_alu instid0(SALU_CYCLE_1)
	s_mov_b32 s0, exec_lo
	s_waitcnt lgkmcnt(0)
	s_barrier
	buffer_gl0_inv
	v_cmpx_gt_u32_e32 3, v0
	s_cbranch_execz .LBB19_9
; %bb.8:
	ds_load_b32 v8, v5 offset:2080
	s_waitcnt lgkmcnt(0)
	v_mov_b32_dpp v10, v8 row_shr:1 row_mask:0xf bank_mask:0xf
	v_and_b32_e32 v9, 3, v4
	s_delay_alu instid0(VALU_DEP_1) | instskip(NEXT) | instid1(VALU_DEP_3)
	v_cmp_ne_u32_e32 vcc_lo, 0, v9
	v_cndmask_b32_e32 v10, 0, v10, vcc_lo
	v_cmp_lt_u32_e32 vcc_lo, 1, v9
	s_delay_alu instid0(VALU_DEP_2) | instskip(NEXT) | instid1(VALU_DEP_1)
	v_add_nc_u32_e32 v8, v10, v8
	v_mov_b32_dpp v10, v8 row_shr:2 row_mask:0xf bank_mask:0xf
	s_delay_alu instid0(VALU_DEP_1) | instskip(NEXT) | instid1(VALU_DEP_1)
	v_cndmask_b32_e32 v9, 0, v10, vcc_lo
	v_add_nc_u32_e32 v8, v8, v9
	ds_store_b32 v5, v8 offset:2080
.LBB19_9:
	s_or_b32 exec_lo, exec_lo, s0
	v_cmp_lt_u32_e32 vcc_lo, 31, v0
	v_mov_b32_e32 v8, 0
	v_mov_b32_e32 v0, 0
	s_waitcnt lgkmcnt(0)
	s_barrier
	buffer_gl0_inv
	s_and_saveexec_b32 s0, vcc_lo
	s_cbranch_execz .LBB19_11
; %bb.10:
	ds_load_b32 v0, v7 offset:2076
.LBB19_11:
	s_or_b32 exec_lo, exec_lo, s0
	v_add_nc_u32_e32 v7, -1, v4
	s_lshl_b64 s[0:1], s[2:3], 2
	s_waitcnt lgkmcnt(0)
	v_add_nc_u32_e32 v6, v0, v6
	s_add_u32 s0, s6, s0
	s_addc_u32 s1, s7, s1
	v_cmp_gt_i32_e32 vcc_lo, 0, v7
	v_cndmask_b32_e32 v7, v7, v4, vcc_lo
	v_cmp_eq_u32_e32 vcc_lo, 0, v4
	s_delay_alu instid0(VALU_DEP_2)
	v_lshlrev_b32_e32 v7, 2, v7
	ds_bpermute_b32 v9, v7, v6
	ds_load_b32 v10, v8 offset:2088
	ds_load_2addr_b32 v[6:7], v3 offset1:1
	s_waitcnt lgkmcnt(2)
	v_cndmask_b32_e32 v0, v9, v0, vcc_lo
	ds_load_2addr_b32 v[8:9], v3 offset0:2 offset1:3
	s_waitcnt lgkmcnt(2)
	v_lshl_add_u32 v0, v10, 16, v0
	ds_load_2addr_b32 v[10:11], v3 offset0:4 offset1:5
	ds_load_b32 v4, v3 offset:24
	s_waitcnt lgkmcnt(3)
	v_add_nc_u32_e32 v6, v0, v6
	s_delay_alu instid0(VALU_DEP_1) | instskip(SKIP_1) | instid1(VALU_DEP_1)
	v_add_nc_u32_e32 v7, v7, v6
	s_waitcnt lgkmcnt(2)
	v_add_nc_u32_e32 v8, v8, v7
	s_delay_alu instid0(VALU_DEP_1) | instskip(SKIP_1) | instid1(VALU_DEP_1)
	v_add_nc_u32_e32 v9, v9, v8
	;; [unrolled: 4-line block ×3, first 2 shown]
	s_waitcnt lgkmcnt(0)
	v_add_nc_u32_e32 v4, v4, v11
	ds_store_2addr_b32 v3, v0, v6 offset1:1
	ds_store_2addr_b32 v3, v7, v8 offset0:2 offset1:3
	ds_store_2addr_b32 v3, v9, v10 offset0:4 offset1:5
	;; [unrolled: 1-line block ×3, first 2 shown]
	s_waitcnt lgkmcnt(0)
	s_barrier
	buffer_gl0_inv
	ds_load_u16 v0, v1
	v_and_b32_e32 v1, 0xffff, v2
	s_waitcnt lgkmcnt(0)
	s_delay_alu instid0(VALU_DEP_1)
	v_add_nc_u32_e32 v0, v0, v1
	global_store_b32 v5, v0, s[0:1]
	s_nop 0
	s_sendmsg sendmsg(MSG_DEALLOC_VGPRS)
	s_endpgm
	.section	.rodata,"a",@progbits
	.p2align	6, 0x0
	.amdhsa_kernel _Z11rank_kernelILj65ELj1ELj4ELb0EL18RadixRankAlgorithm0EdEvPKT4_Pijj
		.amdhsa_group_segment_fixed_size 2096
		.amdhsa_private_segment_fixed_size 0
		.amdhsa_kernarg_size 24
		.amdhsa_user_sgpr_count 15
		.amdhsa_user_sgpr_dispatch_ptr 0
		.amdhsa_user_sgpr_queue_ptr 0
		.amdhsa_user_sgpr_kernarg_segment_ptr 1
		.amdhsa_user_sgpr_dispatch_id 0
		.amdhsa_user_sgpr_private_segment_size 0
		.amdhsa_wavefront_size32 1
		.amdhsa_uses_dynamic_stack 0
		.amdhsa_enable_private_segment 0
		.amdhsa_system_sgpr_workgroup_id_x 1
		.amdhsa_system_sgpr_workgroup_id_y 0
		.amdhsa_system_sgpr_workgroup_id_z 0
		.amdhsa_system_sgpr_workgroup_info 0
		.amdhsa_system_vgpr_workitem_id 0
		.amdhsa_next_free_vgpr 14
		.amdhsa_next_free_sgpr 16
		.amdhsa_reserve_vcc 1
		.amdhsa_float_round_mode_32 0
		.amdhsa_float_round_mode_16_64 0
		.amdhsa_float_denorm_mode_32 3
		.amdhsa_float_denorm_mode_16_64 3
		.amdhsa_dx10_clamp 1
		.amdhsa_ieee_mode 1
		.amdhsa_fp16_overflow 0
		.amdhsa_workgroup_processor_mode 1
		.amdhsa_memory_ordered 1
		.amdhsa_forward_progress 0
		.amdhsa_shared_vgpr_count 0
		.amdhsa_exception_fp_ieee_invalid_op 0
		.amdhsa_exception_fp_denorm_src 0
		.amdhsa_exception_fp_ieee_div_zero 0
		.amdhsa_exception_fp_ieee_overflow 0
		.amdhsa_exception_fp_ieee_underflow 0
		.amdhsa_exception_fp_ieee_inexact 0
		.amdhsa_exception_int_div_zero 0
	.end_amdhsa_kernel
	.section	.text._Z11rank_kernelILj65ELj1ELj4ELb0EL18RadixRankAlgorithm0EdEvPKT4_Pijj,"axG",@progbits,_Z11rank_kernelILj65ELj1ELj4ELb0EL18RadixRankAlgorithm0EdEvPKT4_Pijj,comdat
.Lfunc_end19:
	.size	_Z11rank_kernelILj65ELj1ELj4ELb0EL18RadixRankAlgorithm0EdEvPKT4_Pijj, .Lfunc_end19-_Z11rank_kernelILj65ELj1ELj4ELb0EL18RadixRankAlgorithm0EdEvPKT4_Pijj
                                        ; -- End function
	.section	.AMDGPU.csdata,"",@progbits
; Kernel info:
; codeLenInByte = 1080
; NumSgprs: 18
; NumVgprs: 14
; ScratchSize: 0
; MemoryBound: 0
; FloatMode: 240
; IeeeMode: 1
; LDSByteSize: 2096 bytes/workgroup (compile time only)
; SGPRBlocks: 2
; VGPRBlocks: 1
; NumSGPRsForWavesPerEU: 18
; NumVGPRsForWavesPerEU: 14
; Occupancy: 16
; WaveLimiterHint : 0
; COMPUTE_PGM_RSRC2:SCRATCH_EN: 0
; COMPUTE_PGM_RSRC2:USER_SGPR: 15
; COMPUTE_PGM_RSRC2:TRAP_HANDLER: 0
; COMPUTE_PGM_RSRC2:TGID_X_EN: 1
; COMPUTE_PGM_RSRC2:TGID_Y_EN: 0
; COMPUTE_PGM_RSRC2:TGID_Z_EN: 0
; COMPUTE_PGM_RSRC2:TIDIG_COMP_CNT: 0
	.section	.text._Z11rank_kernelILj512ELj1ELj4ELb1EL18RadixRankAlgorithm0EtEvPKT4_Pijj,"axG",@progbits,_Z11rank_kernelILj512ELj1ELj4ELb1EL18RadixRankAlgorithm0EtEvPKT4_Pijj,comdat
	.protected	_Z11rank_kernelILj512ELj1ELj4ELb1EL18RadixRankAlgorithm0EtEvPKT4_Pijj ; -- Begin function _Z11rank_kernelILj512ELj1ELj4ELb1EL18RadixRankAlgorithm0EtEvPKT4_Pijj
	.globl	_Z11rank_kernelILj512ELj1ELj4ELb1EL18RadixRankAlgorithm0EtEvPKT4_Pijj
	.p2align	8
	.type	_Z11rank_kernelILj512ELj1ELj4ELb1EL18RadixRankAlgorithm0EtEvPKT4_Pijj,@function
_Z11rank_kernelILj512ELj1ELj4ELb1EL18RadixRankAlgorithm0EtEvPKT4_Pijj: ; @_Z11rank_kernelILj512ELj1ELj4ELb1EL18RadixRankAlgorithm0EtEvPKT4_Pijj
; %bb.0:
	s_load_b128 s[4:7], s[0:1], 0x0
	s_lshl_b32 s8, s15, 9
	s_mov_b32 s9, 0
	v_dual_mov_b32 v2, 0 :: v_dual_lshlrev_b32 v1, 1, v0
	s_lshl_b64 s[2:3], s[8:9], 1
	v_lshlrev_b32_e32 v3, 2, v0
	v_or_b32_e32 v4, 0xfffffe00, v0
	s_waitcnt lgkmcnt(0)
	s_add_u32 s2, s4, s2
	s_addc_u32 s3, s5, s3
	global_load_u16 v1, v1, s[2:3]
	s_mov_b32 s2, s9
.LBB20_1:                               ; =>This Inner Loop Header: Depth=1
	v_add_nc_u32_e32 v4, 0x200, v4
	ds_store_b32 v3, v2
	v_add_nc_u32_e32 v3, 0x800, v3
	v_cmp_lt_u32_e32 vcc_lo, 0xdff, v4
	s_or_b32 s2, vcc_lo, s2
	s_delay_alu instid0(SALU_CYCLE_1)
	s_and_not1_b32 exec_lo, exec_lo, s2
	s_cbranch_execnz .LBB20_1
; %bb.2:
	s_or_b32 exec_lo, exec_lo, s2
	s_load_b64 s[0:1], s[0:1], 0x10
	s_waitcnt vmcnt(0)
	v_and_b32_e32 v1, 0xffff, v1
	v_lshlrev_b32_e32 v3, 5, v0
	s_mov_b32 s4, exec_lo
	s_waitcnt lgkmcnt(0)
	s_and_b32 s1, s1, 31
	s_and_b32 s0, s0, 31
	s_delay_alu instid0(SALU_CYCLE_1) | instskip(NEXT) | instid1(SALU_CYCLE_1)
	s_add_i32 s0, s0, s1
	s_sub_i32 s0, 32, s0
	s_delay_alu instid0(SALU_CYCLE_1) | instskip(SKIP_3) | instid1(VALU_DEP_1)
	v_lshlrev_b32_e32 v1, s0, v1
	s_sub_i32 s0, 32, s1
	s_cmp_lg_u32 s1, 0
	s_cselect_b32 vcc_lo, -1, 0
	v_bfe_u32 v1, v1, s0, 16
	s_delay_alu instid0(VALU_DEP_1) | instskip(NEXT) | instid1(VALU_DEP_1)
	v_xor_b32_e32 v1, 15, v1
	v_cndmask_b32_e32 v1, 15, v1, vcc_lo
	s_delay_alu instid0(VALU_DEP_1) | instskip(NEXT) | instid1(VALU_DEP_1)
	v_lshlrev_b32_e32 v2, 9, v1
	v_and_or_b32 v2, 0xe00, v2, v0
	s_delay_alu instid0(VALU_DEP_1) | instskip(SKIP_1) | instid1(VALU_DEP_1)
	v_lshlrev_b32_e32 v2, 1, v2
	v_lshrrev_b32_e32 v1, 3, v1
	v_add_lshl_u32 v1, v2, v1, 1
	ds_load_u16 v2, v1
	s_waitcnt lgkmcnt(0)
	v_add_nc_u16 v4, v2, 1
	ds_store_b16 v1, v4
	s_waitcnt lgkmcnt(0)
	s_barrier
	buffer_gl0_inv
	ds_load_2addr_b32 v[4:5], v3 offset1:1
	ds_load_2addr_b32 v[6:7], v3 offset0:2 offset1:3
	ds_load_2addr_b32 v[8:9], v3 offset0:4 offset1:5
	ds_load_2addr_b32 v[10:11], v3 offset0:6 offset1:7
	s_waitcnt lgkmcnt(3)
	v_add_nc_u32_e32 v4, v5, v4
	s_waitcnt lgkmcnt(2)
	s_delay_alu instid0(VALU_DEP_1) | instskip(SKIP_1) | instid1(VALU_DEP_1)
	v_add3_u32 v4, v4, v6, v7
	s_waitcnt lgkmcnt(1)
	v_add3_u32 v5, v4, v8, v9
	v_mbcnt_lo_u32_b32 v4, -1, 0
	v_or_b32_e32 v8, 31, v0
	s_waitcnt lgkmcnt(0)
	s_delay_alu instid0(VALU_DEP_3) | instskip(NEXT) | instid1(VALU_DEP_3)
	v_add3_u32 v5, v5, v10, v11
	v_and_b32_e32 v6, 15, v4
	s_delay_alu instid0(VALU_DEP_2) | instskip(NEXT) | instid1(VALU_DEP_2)
	v_mov_b32_dpp v7, v5 row_shr:1 row_mask:0xf bank_mask:0xf
	v_cmp_eq_u32_e32 vcc_lo, 0, v6
	v_cmp_lt_u32_e64 s0, 1, v6
	v_cmp_lt_u32_e64 s1, 3, v6
	;; [unrolled: 1-line block ×3, first 2 shown]
	v_cndmask_b32_e64 v7, v7, 0, vcc_lo
	s_delay_alu instid0(VALU_DEP_1) | instskip(NEXT) | instid1(VALU_DEP_1)
	v_add_nc_u32_e32 v5, v7, v5
	v_mov_b32_dpp v7, v5 row_shr:2 row_mask:0xf bank_mask:0xf
	s_delay_alu instid0(VALU_DEP_1) | instskip(NEXT) | instid1(VALU_DEP_1)
	v_cndmask_b32_e64 v7, 0, v7, s0
	v_add_nc_u32_e32 v5, v5, v7
	s_delay_alu instid0(VALU_DEP_1) | instskip(NEXT) | instid1(VALU_DEP_1)
	v_mov_b32_dpp v7, v5 row_shr:4 row_mask:0xf bank_mask:0xf
	v_cndmask_b32_e64 v7, 0, v7, s1
	s_delay_alu instid0(VALU_DEP_1) | instskip(NEXT) | instid1(VALU_DEP_1)
	v_add_nc_u32_e32 v5, v5, v7
	v_mov_b32_dpp v7, v5 row_shr:8 row_mask:0xf bank_mask:0xf
	s_delay_alu instid0(VALU_DEP_1) | instskip(SKIP_1) | instid1(VALU_DEP_2)
	v_cndmask_b32_e64 v6, 0, v7, s2
	v_bfe_i32 v7, v4, 4, 1
	v_add_nc_u32_e32 v5, v5, v6
	ds_swizzle_b32 v6, v5 offset:swizzle(BROADCAST,32,15)
	s_waitcnt lgkmcnt(0)
	v_and_b32_e32 v6, v7, v6
	v_lshrrev_b32_e32 v7, 5, v0
	s_delay_alu instid0(VALU_DEP_2) | instskip(NEXT) | instid1(VALU_DEP_2)
	v_add_nc_u32_e32 v6, v5, v6
	v_lshlrev_b32_e32 v7, 2, v7
	v_cmpx_eq_u32_e64 v8, v0
	s_cbranch_execz .LBB20_4
; %bb.3:
	ds_store_b32 v7, v6 offset:16384
.LBB20_4:
	s_or_b32 exec_lo, exec_lo, s4
	v_lshlrev_b32_e32 v5, 2, v0
	s_mov_b32 s4, exec_lo
	s_waitcnt lgkmcnt(0)
	s_barrier
	buffer_gl0_inv
	v_cmpx_gt_u32_e32 16, v0
	s_cbranch_execz .LBB20_6
; %bb.5:
	ds_load_b32 v8, v5 offset:16384
	s_waitcnt lgkmcnt(0)
	v_mov_b32_dpp v9, v8 row_shr:1 row_mask:0xf bank_mask:0xf
	s_delay_alu instid0(VALU_DEP_1) | instskip(NEXT) | instid1(VALU_DEP_1)
	v_cndmask_b32_e64 v9, v9, 0, vcc_lo
	v_add_nc_u32_e32 v8, v9, v8
	s_delay_alu instid0(VALU_DEP_1) | instskip(NEXT) | instid1(VALU_DEP_1)
	v_mov_b32_dpp v9, v8 row_shr:2 row_mask:0xf bank_mask:0xf
	v_cndmask_b32_e64 v9, 0, v9, s0
	s_delay_alu instid0(VALU_DEP_1) | instskip(NEXT) | instid1(VALU_DEP_1)
	v_add_nc_u32_e32 v8, v8, v9
	v_mov_b32_dpp v9, v8 row_shr:4 row_mask:0xf bank_mask:0xf
	s_delay_alu instid0(VALU_DEP_1) | instskip(NEXT) | instid1(VALU_DEP_1)
	v_cndmask_b32_e64 v9, 0, v9, s1
	v_add_nc_u32_e32 v8, v8, v9
	s_delay_alu instid0(VALU_DEP_1) | instskip(NEXT) | instid1(VALU_DEP_1)
	v_mov_b32_dpp v9, v8 row_shr:8 row_mask:0xf bank_mask:0xf
	v_cndmask_b32_e64 v9, 0, v9, s2
	s_delay_alu instid0(VALU_DEP_1)
	v_add_nc_u32_e32 v8, v8, v9
	ds_store_b32 v5, v8 offset:16384
.LBB20_6:
	s_or_b32 exec_lo, exec_lo, s4
	v_cmp_lt_u32_e32 vcc_lo, 31, v0
	v_mov_b32_e32 v8, 0
	v_mov_b32_e32 v0, 0
	s_waitcnt lgkmcnt(0)
	s_barrier
	buffer_gl0_inv
	s_and_saveexec_b32 s0, vcc_lo
	s_cbranch_execz .LBB20_8
; %bb.7:
	ds_load_b32 v0, v7 offset:16380
.LBB20_8:
	s_or_b32 exec_lo, exec_lo, s0
	v_add_nc_u32_e32 v7, -1, v4
	s_lshl_b64 s[0:1], s[8:9], 2
	s_waitcnt lgkmcnt(0)
	v_add_nc_u32_e32 v6, v0, v6
	s_add_u32 s0, s6, s0
	s_addc_u32 s1, s7, s1
	v_cmp_gt_i32_e32 vcc_lo, 0, v7
	v_cndmask_b32_e32 v7, v7, v4, vcc_lo
	v_cmp_eq_u32_e32 vcc_lo, 0, v4
	s_delay_alu instid0(VALU_DEP_2)
	v_lshlrev_b32_e32 v7, 2, v7
	ds_bpermute_b32 v9, v7, v6
	ds_load_b32 v10, v8 offset:16444
	ds_load_2addr_b32 v[6:7], v3 offset1:1
	s_waitcnt lgkmcnt(2)
	v_cndmask_b32_e32 v0, v9, v0, vcc_lo
	ds_load_2addr_b32 v[8:9], v3 offset0:2 offset1:3
	s_waitcnt lgkmcnt(2)
	v_lshl_add_u32 v0, v10, 16, v0
	ds_load_2addr_b32 v[10:11], v3 offset0:4 offset1:5
	ds_load_b32 v4, v3 offset:24
	s_waitcnt lgkmcnt(3)
	v_add_nc_u32_e32 v6, v0, v6
	s_delay_alu instid0(VALU_DEP_1) | instskip(SKIP_1) | instid1(VALU_DEP_1)
	v_add_nc_u32_e32 v7, v7, v6
	s_waitcnt lgkmcnt(2)
	v_add_nc_u32_e32 v8, v8, v7
	s_delay_alu instid0(VALU_DEP_1) | instskip(SKIP_1) | instid1(VALU_DEP_1)
	v_add_nc_u32_e32 v9, v9, v8
	;; [unrolled: 4-line block ×3, first 2 shown]
	s_waitcnt lgkmcnt(0)
	v_add_nc_u32_e32 v4, v4, v11
	ds_store_2addr_b32 v3, v0, v6 offset1:1
	ds_store_2addr_b32 v3, v7, v8 offset0:2 offset1:3
	ds_store_2addr_b32 v3, v9, v10 offset0:4 offset1:5
	ds_store_2addr_b32 v3, v11, v4 offset0:6 offset1:7
	s_waitcnt lgkmcnt(0)
	s_barrier
	buffer_gl0_inv
	ds_load_u16 v0, v1
	v_and_b32_e32 v1, 0xffff, v2
	s_waitcnt lgkmcnt(0)
	s_delay_alu instid0(VALU_DEP_1)
	v_add_nc_u32_e32 v0, v0, v1
	global_store_b32 v5, v0, s[0:1]
	s_nop 0
	s_sendmsg sendmsg(MSG_DEALLOC_VGPRS)
	s_endpgm
	.section	.rodata,"a",@progbits
	.p2align	6, 0x0
	.amdhsa_kernel _Z11rank_kernelILj512ELj1ELj4ELb1EL18RadixRankAlgorithm0EtEvPKT4_Pijj
		.amdhsa_group_segment_fixed_size 16448
		.amdhsa_private_segment_fixed_size 0
		.amdhsa_kernarg_size 24
		.amdhsa_user_sgpr_count 15
		.amdhsa_user_sgpr_dispatch_ptr 0
		.amdhsa_user_sgpr_queue_ptr 0
		.amdhsa_user_sgpr_kernarg_segment_ptr 1
		.amdhsa_user_sgpr_dispatch_id 0
		.amdhsa_user_sgpr_private_segment_size 0
		.amdhsa_wavefront_size32 1
		.amdhsa_uses_dynamic_stack 0
		.amdhsa_enable_private_segment 0
		.amdhsa_system_sgpr_workgroup_id_x 1
		.amdhsa_system_sgpr_workgroup_id_y 0
		.amdhsa_system_sgpr_workgroup_id_z 0
		.amdhsa_system_sgpr_workgroup_info 0
		.amdhsa_system_vgpr_workitem_id 0
		.amdhsa_next_free_vgpr 12
		.amdhsa_next_free_sgpr 16
		.amdhsa_reserve_vcc 1
		.amdhsa_float_round_mode_32 0
		.amdhsa_float_round_mode_16_64 0
		.amdhsa_float_denorm_mode_32 3
		.amdhsa_float_denorm_mode_16_64 3
		.amdhsa_dx10_clamp 1
		.amdhsa_ieee_mode 1
		.amdhsa_fp16_overflow 0
		.amdhsa_workgroup_processor_mode 1
		.amdhsa_memory_ordered 1
		.amdhsa_forward_progress 0
		.amdhsa_shared_vgpr_count 0
		.amdhsa_exception_fp_ieee_invalid_op 0
		.amdhsa_exception_fp_denorm_src 0
		.amdhsa_exception_fp_ieee_div_zero 0
		.amdhsa_exception_fp_ieee_overflow 0
		.amdhsa_exception_fp_ieee_underflow 0
		.amdhsa_exception_fp_ieee_inexact 0
		.amdhsa_exception_int_div_zero 0
	.end_amdhsa_kernel
	.section	.text._Z11rank_kernelILj512ELj1ELj4ELb1EL18RadixRankAlgorithm0EtEvPKT4_Pijj,"axG",@progbits,_Z11rank_kernelILj512ELj1ELj4ELb1EL18RadixRankAlgorithm0EtEvPKT4_Pijj,comdat
.Lfunc_end20:
	.size	_Z11rank_kernelILj512ELj1ELj4ELb1EL18RadixRankAlgorithm0EtEvPKT4_Pijj, .Lfunc_end20-_Z11rank_kernelILj512ELj1ELj4ELb1EL18RadixRankAlgorithm0EtEvPKT4_Pijj
                                        ; -- End function
	.section	.AMDGPU.csdata,"",@progbits
; Kernel info:
; codeLenInByte = 1060
; NumSgprs: 18
; NumVgprs: 12
; ScratchSize: 0
; MemoryBound: 0
; FloatMode: 240
; IeeeMode: 1
; LDSByteSize: 16448 bytes/workgroup (compile time only)
; SGPRBlocks: 2
; VGPRBlocks: 1
; NumSGPRsForWavesPerEU: 18
; NumVGPRsForWavesPerEU: 12
; Occupancy: 16
; WaveLimiterHint : 0
; COMPUTE_PGM_RSRC2:SCRATCH_EN: 0
; COMPUTE_PGM_RSRC2:USER_SGPR: 15
; COMPUTE_PGM_RSRC2:TRAP_HANDLER: 0
; COMPUTE_PGM_RSRC2:TGID_X_EN: 1
; COMPUTE_PGM_RSRC2:TGID_Y_EN: 0
; COMPUTE_PGM_RSRC2:TGID_Z_EN: 0
; COMPUTE_PGM_RSRC2:TIDIG_COMP_CNT: 0
	.section	.text._Z11rank_kernelILj256ELj1ELj4ELb0EL18RadixRankAlgorithm0EfEvPKT4_Pijj,"axG",@progbits,_Z11rank_kernelILj256ELj1ELj4ELb0EL18RadixRankAlgorithm0EfEvPKT4_Pijj,comdat
	.protected	_Z11rank_kernelILj256ELj1ELj4ELb0EL18RadixRankAlgorithm0EfEvPKT4_Pijj ; -- Begin function _Z11rank_kernelILj256ELj1ELj4ELb0EL18RadixRankAlgorithm0EfEvPKT4_Pijj
	.globl	_Z11rank_kernelILj256ELj1ELj4ELb0EL18RadixRankAlgorithm0EfEvPKT4_Pijj
	.p2align	8
	.type	_Z11rank_kernelILj256ELj1ELj4ELb0EL18RadixRankAlgorithm0EfEvPKT4_Pijj,@function
_Z11rank_kernelILj256ELj1ELj4ELb0EL18RadixRankAlgorithm0EfEvPKT4_Pijj: ; @_Z11rank_kernelILj256ELj1ELj4ELb0EL18RadixRankAlgorithm0EfEvPKT4_Pijj
; %bb.0:
	s_load_b128 s[4:7], s[0:1], 0x0
	s_lshl_b32 s8, s15, 8
	s_mov_b32 s9, 0
	v_dual_mov_b32 v3, 0 :: v_dual_lshlrev_b32 v2, 2, v0
	s_lshl_b64 s[2:3], s[8:9], 2
	v_or_b32_e32 v4, 0xffffff00, v0
	s_waitcnt lgkmcnt(0)
	s_add_u32 s4, s4, s2
	s_addc_u32 s5, s5, s3
	global_load_b32 v1, v2, s[4:5]
.LBB21_1:                               ; =>This Inner Loop Header: Depth=1
	v_add_nc_u32_e32 v4, 0x100, v4
	ds_store_b32 v2, v3
	v_add_nc_u32_e32 v2, 0x400, v2
	v_cmp_lt_u32_e32 vcc_lo, 0x6ff, v4
	s_or_b32 s9, vcc_lo, s9
	s_delay_alu instid0(SALU_CYCLE_1)
	s_and_not1_b32 exec_lo, exec_lo, s9
	s_cbranch_execnz .LBB21_1
; %bb.2:
	s_or_b32 exec_lo, exec_lo, s9
	s_load_b64 s[0:1], s[0:1], 0x10
	s_waitcnt vmcnt(0)
	v_cmp_lt_i32_e32 vcc_lo, -1, v1
	v_lshlrev_b32_e32 v3, 5, v0
	v_cndmask_b32_e64 v2, -1, 0x80000000, vcc_lo
	s_delay_alu instid0(VALU_DEP_1) | instskip(NEXT) | instid1(VALU_DEP_1)
	v_xor_b32_e32 v1, v2, v1
	v_cmp_ne_u32_e32 vcc_lo, 0x7fffffff, v1
	s_waitcnt lgkmcnt(0)
	s_and_b32 s1, s1, 31
	s_and_b32 s0, s0, 31
	v_cndmask_b32_e32 v1, 0x80000000, v1, vcc_lo
	s_add_i32 s0, s0, s1
	s_delay_alu instid0(SALU_CYCLE_1)
	s_sub_i32 s0, 32, s0
	s_delay_alu instid0(VALU_DEP_1) | instid1(SALU_CYCLE_1)
	v_lshlrev_b32_e32 v1, s0, v1
	s_sub_i32 s0, 32, s1
	s_cmp_lg_u32 s1, 0
	s_cselect_b32 vcc_lo, -1, 0
	s_delay_alu instid0(VALU_DEP_1) | instskip(SKIP_1) | instid1(VALU_DEP_1)
	v_lshrrev_b32_e32 v1, s0, v1
	s_mov_b32 s0, exec_lo
	v_cndmask_b32_e32 v1, 0, v1, vcc_lo
	s_delay_alu instid0(VALU_DEP_1) | instskip(SKIP_1) | instid1(VALU_DEP_2)
	v_lshlrev_b32_e32 v2, 8, v1
	v_lshrrev_b32_e32 v1, 3, v1
	v_and_or_b32 v2, 0x700, v2, v0
	s_delay_alu instid0(VALU_DEP_1) | instskip(NEXT) | instid1(VALU_DEP_1)
	v_lshlrev_b32_e32 v2, 1, v2
	v_add_lshl_u32 v1, v2, v1, 1
	ds_load_u16 v2, v1
	s_waitcnt lgkmcnt(0)
	v_add_nc_u16 v4, v2, 1
	ds_store_b16 v1, v4
	s_waitcnt lgkmcnt(0)
	s_barrier
	buffer_gl0_inv
	ds_load_2addr_b32 v[4:5], v3 offset1:1
	ds_load_2addr_b32 v[6:7], v3 offset0:2 offset1:3
	ds_load_2addr_b32 v[8:9], v3 offset0:4 offset1:5
	;; [unrolled: 1-line block ×3, first 2 shown]
	s_waitcnt lgkmcnt(3)
	v_add_nc_u32_e32 v4, v5, v4
	s_waitcnt lgkmcnt(2)
	s_delay_alu instid0(VALU_DEP_1) | instskip(SKIP_1) | instid1(VALU_DEP_1)
	v_add3_u32 v4, v4, v6, v7
	s_waitcnt lgkmcnt(1)
	v_add3_u32 v5, v4, v8, v9
	v_mbcnt_lo_u32_b32 v4, -1, 0
	v_or_b32_e32 v8, 31, v0
	s_waitcnt lgkmcnt(0)
	s_delay_alu instid0(VALU_DEP_3) | instskip(NEXT) | instid1(VALU_DEP_3)
	v_add3_u32 v5, v5, v10, v11
	v_and_b32_e32 v6, 15, v4
	s_delay_alu instid0(VALU_DEP_2) | instskip(NEXT) | instid1(VALU_DEP_2)
	v_mov_b32_dpp v7, v5 row_shr:1 row_mask:0xf bank_mask:0xf
	v_cmp_ne_u32_e32 vcc_lo, 0, v6
	s_delay_alu instid0(VALU_DEP_2) | instskip(SKIP_1) | instid1(VALU_DEP_2)
	v_cndmask_b32_e32 v7, 0, v7, vcc_lo
	v_cmp_lt_u32_e32 vcc_lo, 1, v6
	v_add_nc_u32_e32 v5, v7, v5
	s_delay_alu instid0(VALU_DEP_1) | instskip(NEXT) | instid1(VALU_DEP_1)
	v_mov_b32_dpp v7, v5 row_shr:2 row_mask:0xf bank_mask:0xf
	v_cndmask_b32_e32 v7, 0, v7, vcc_lo
	v_cmp_lt_u32_e32 vcc_lo, 3, v6
	s_delay_alu instid0(VALU_DEP_2) | instskip(NEXT) | instid1(VALU_DEP_1)
	v_add_nc_u32_e32 v5, v5, v7
	v_mov_b32_dpp v7, v5 row_shr:4 row_mask:0xf bank_mask:0xf
	s_delay_alu instid0(VALU_DEP_1) | instskip(SKIP_1) | instid1(VALU_DEP_2)
	v_cndmask_b32_e32 v7, 0, v7, vcc_lo
	v_cmp_lt_u32_e32 vcc_lo, 7, v6
	v_add_nc_u32_e32 v5, v5, v7
	s_delay_alu instid0(VALU_DEP_1) | instskip(NEXT) | instid1(VALU_DEP_1)
	v_mov_b32_dpp v7, v5 row_shr:8 row_mask:0xf bank_mask:0xf
	v_cndmask_b32_e32 v6, 0, v7, vcc_lo
	v_bfe_i32 v7, v4, 4, 1
	s_delay_alu instid0(VALU_DEP_2) | instskip(SKIP_4) | instid1(VALU_DEP_2)
	v_add_nc_u32_e32 v5, v5, v6
	ds_swizzle_b32 v6, v5 offset:swizzle(BROADCAST,32,15)
	s_waitcnt lgkmcnt(0)
	v_and_b32_e32 v6, v7, v6
	v_lshrrev_b32_e32 v7, 5, v0
	v_add_nc_u32_e32 v6, v5, v6
	s_delay_alu instid0(VALU_DEP_2)
	v_lshlrev_b32_e32 v7, 2, v7
	v_cmpx_eq_u32_e64 v8, v0
	s_cbranch_execz .LBB21_4
; %bb.3:
	ds_store_b32 v7, v6 offset:8192
.LBB21_4:
	s_or_b32 exec_lo, exec_lo, s0
	v_lshlrev_b32_e32 v5, 2, v0
	s_mov_b32 s0, exec_lo
	s_waitcnt lgkmcnt(0)
	s_barrier
	buffer_gl0_inv
	v_cmpx_gt_u32_e32 8, v0
	s_cbranch_execz .LBB21_6
; %bb.5:
	ds_load_b32 v8, v5 offset:8192
	s_waitcnt lgkmcnt(0)
	v_mov_b32_dpp v10, v8 row_shr:1 row_mask:0xf bank_mask:0xf
	v_and_b32_e32 v9, 7, v4
	s_delay_alu instid0(VALU_DEP_1) | instskip(NEXT) | instid1(VALU_DEP_3)
	v_cmp_ne_u32_e32 vcc_lo, 0, v9
	v_cndmask_b32_e32 v10, 0, v10, vcc_lo
	v_cmp_lt_u32_e32 vcc_lo, 1, v9
	s_delay_alu instid0(VALU_DEP_2) | instskip(NEXT) | instid1(VALU_DEP_1)
	v_add_nc_u32_e32 v8, v10, v8
	v_mov_b32_dpp v10, v8 row_shr:2 row_mask:0xf bank_mask:0xf
	s_delay_alu instid0(VALU_DEP_1) | instskip(SKIP_1) | instid1(VALU_DEP_2)
	v_cndmask_b32_e32 v10, 0, v10, vcc_lo
	v_cmp_lt_u32_e32 vcc_lo, 3, v9
	v_add_nc_u32_e32 v8, v8, v10
	s_delay_alu instid0(VALU_DEP_1) | instskip(NEXT) | instid1(VALU_DEP_1)
	v_mov_b32_dpp v10, v8 row_shr:4 row_mask:0xf bank_mask:0xf
	v_cndmask_b32_e32 v9, 0, v10, vcc_lo
	s_delay_alu instid0(VALU_DEP_1)
	v_add_nc_u32_e32 v8, v8, v9
	ds_store_b32 v5, v8 offset:8192
.LBB21_6:
	s_or_b32 exec_lo, exec_lo, s0
	v_cmp_lt_u32_e32 vcc_lo, 31, v0
	v_mov_b32_e32 v8, 0
	v_mov_b32_e32 v0, 0
	s_waitcnt lgkmcnt(0)
	s_barrier
	buffer_gl0_inv
	s_and_saveexec_b32 s0, vcc_lo
	s_cbranch_execz .LBB21_8
; %bb.7:
	ds_load_b32 v0, v7 offset:8188
.LBB21_8:
	s_or_b32 exec_lo, exec_lo, s0
	v_add_nc_u32_e32 v7, -1, v4
	s_add_u32 s0, s6, s2
	s_addc_u32 s1, s7, s3
	s_waitcnt lgkmcnt(0)
	v_add_nc_u32_e32 v6, v0, v6
	v_cmp_gt_i32_e32 vcc_lo, 0, v7
	v_cndmask_b32_e32 v7, v7, v4, vcc_lo
	v_cmp_eq_u32_e32 vcc_lo, 0, v4
	s_delay_alu instid0(VALU_DEP_2)
	v_lshlrev_b32_e32 v7, 2, v7
	ds_bpermute_b32 v9, v7, v6
	ds_load_b32 v10, v8 offset:8220
	ds_load_2addr_b32 v[6:7], v3 offset1:1
	s_waitcnt lgkmcnt(2)
	v_cndmask_b32_e32 v0, v9, v0, vcc_lo
	ds_load_2addr_b32 v[8:9], v3 offset0:2 offset1:3
	s_waitcnt lgkmcnt(2)
	v_lshl_add_u32 v0, v10, 16, v0
	ds_load_2addr_b32 v[10:11], v3 offset0:4 offset1:5
	ds_load_b32 v4, v3 offset:24
	s_waitcnt lgkmcnt(3)
	v_add_nc_u32_e32 v6, v0, v6
	s_delay_alu instid0(VALU_DEP_1) | instskip(SKIP_1) | instid1(VALU_DEP_1)
	v_add_nc_u32_e32 v7, v7, v6
	s_waitcnt lgkmcnt(2)
	v_add_nc_u32_e32 v8, v8, v7
	s_delay_alu instid0(VALU_DEP_1) | instskip(SKIP_1) | instid1(VALU_DEP_1)
	v_add_nc_u32_e32 v9, v9, v8
	;; [unrolled: 4-line block ×3, first 2 shown]
	s_waitcnt lgkmcnt(0)
	v_add_nc_u32_e32 v4, v4, v11
	ds_store_2addr_b32 v3, v0, v6 offset1:1
	ds_store_2addr_b32 v3, v7, v8 offset0:2 offset1:3
	ds_store_2addr_b32 v3, v9, v10 offset0:4 offset1:5
	;; [unrolled: 1-line block ×3, first 2 shown]
	s_waitcnt lgkmcnt(0)
	s_barrier
	buffer_gl0_inv
	ds_load_u16 v0, v1
	v_and_b32_e32 v1, 0xffff, v2
	s_waitcnt lgkmcnt(0)
	s_delay_alu instid0(VALU_DEP_1)
	v_add_nc_u32_e32 v0, v0, v1
	global_store_b32 v5, v0, s[0:1]
	s_nop 0
	s_sendmsg sendmsg(MSG_DEALLOC_VGPRS)
	s_endpgm
	.section	.rodata,"a",@progbits
	.p2align	6, 0x0
	.amdhsa_kernel _Z11rank_kernelILj256ELj1ELj4ELb0EL18RadixRankAlgorithm0EfEvPKT4_Pijj
		.amdhsa_group_segment_fixed_size 8224
		.amdhsa_private_segment_fixed_size 0
		.amdhsa_kernarg_size 24
		.amdhsa_user_sgpr_count 15
		.amdhsa_user_sgpr_dispatch_ptr 0
		.amdhsa_user_sgpr_queue_ptr 0
		.amdhsa_user_sgpr_kernarg_segment_ptr 1
		.amdhsa_user_sgpr_dispatch_id 0
		.amdhsa_user_sgpr_private_segment_size 0
		.amdhsa_wavefront_size32 1
		.amdhsa_uses_dynamic_stack 0
		.amdhsa_enable_private_segment 0
		.amdhsa_system_sgpr_workgroup_id_x 1
		.amdhsa_system_sgpr_workgroup_id_y 0
		.amdhsa_system_sgpr_workgroup_id_z 0
		.amdhsa_system_sgpr_workgroup_info 0
		.amdhsa_system_vgpr_workitem_id 0
		.amdhsa_next_free_vgpr 12
		.amdhsa_next_free_sgpr 16
		.amdhsa_reserve_vcc 1
		.amdhsa_float_round_mode_32 0
		.amdhsa_float_round_mode_16_64 0
		.amdhsa_float_denorm_mode_32 3
		.amdhsa_float_denorm_mode_16_64 3
		.amdhsa_dx10_clamp 1
		.amdhsa_ieee_mode 1
		.amdhsa_fp16_overflow 0
		.amdhsa_workgroup_processor_mode 1
		.amdhsa_memory_ordered 1
		.amdhsa_forward_progress 0
		.amdhsa_shared_vgpr_count 0
		.amdhsa_exception_fp_ieee_invalid_op 0
		.amdhsa_exception_fp_denorm_src 0
		.amdhsa_exception_fp_ieee_div_zero 0
		.amdhsa_exception_fp_ieee_overflow 0
		.amdhsa_exception_fp_ieee_underflow 0
		.amdhsa_exception_fp_ieee_inexact 0
		.amdhsa_exception_int_div_zero 0
	.end_amdhsa_kernel
	.section	.text._Z11rank_kernelILj256ELj1ELj4ELb0EL18RadixRankAlgorithm0EfEvPKT4_Pijj,"axG",@progbits,_Z11rank_kernelILj256ELj1ELj4ELb0EL18RadixRankAlgorithm0EfEvPKT4_Pijj,comdat
.Lfunc_end21:
	.size	_Z11rank_kernelILj256ELj1ELj4ELb0EL18RadixRankAlgorithm0EfEvPKT4_Pijj, .Lfunc_end21-_Z11rank_kernelILj256ELj1ELj4ELb0EL18RadixRankAlgorithm0EfEvPKT4_Pijj
                                        ; -- End function
	.section	.AMDGPU.csdata,"",@progbits
; Kernel info:
; codeLenInByte = 1028
; NumSgprs: 18
; NumVgprs: 12
; ScratchSize: 0
; MemoryBound: 0
; FloatMode: 240
; IeeeMode: 1
; LDSByteSize: 8224 bytes/workgroup (compile time only)
; SGPRBlocks: 2
; VGPRBlocks: 1
; NumSGPRsForWavesPerEU: 18
; NumVGPRsForWavesPerEU: 12
; Occupancy: 16
; WaveLimiterHint : 0
; COMPUTE_PGM_RSRC2:SCRATCH_EN: 0
; COMPUTE_PGM_RSRC2:USER_SGPR: 15
; COMPUTE_PGM_RSRC2:TRAP_HANDLER: 0
; COMPUTE_PGM_RSRC2:TGID_X_EN: 1
; COMPUTE_PGM_RSRC2:TGID_Y_EN: 0
; COMPUTE_PGM_RSRC2:TGID_Z_EN: 0
; COMPUTE_PGM_RSRC2:TIDIG_COMP_CNT: 0
	.section	.text._Z11rank_kernelILj128ELj1ELj4ELb0EL18RadixRankAlgorithm0E12hip_bfloat16EvPKT4_Pijj,"axG",@progbits,_Z11rank_kernelILj128ELj1ELj4ELb0EL18RadixRankAlgorithm0E12hip_bfloat16EvPKT4_Pijj,comdat
	.protected	_Z11rank_kernelILj128ELj1ELj4ELb0EL18RadixRankAlgorithm0E12hip_bfloat16EvPKT4_Pijj ; -- Begin function _Z11rank_kernelILj128ELj1ELj4ELb0EL18RadixRankAlgorithm0E12hip_bfloat16EvPKT4_Pijj
	.globl	_Z11rank_kernelILj128ELj1ELj4ELb0EL18RadixRankAlgorithm0E12hip_bfloat16EvPKT4_Pijj
	.p2align	8
	.type	_Z11rank_kernelILj128ELj1ELj4ELb0EL18RadixRankAlgorithm0E12hip_bfloat16EvPKT4_Pijj,@function
_Z11rank_kernelILj128ELj1ELj4ELb0EL18RadixRankAlgorithm0E12hip_bfloat16EvPKT4_Pijj: ; @_Z11rank_kernelILj128ELj1ELj4ELb0EL18RadixRankAlgorithm0E12hip_bfloat16EvPKT4_Pijj
; %bb.0:
	s_load_b128 s[4:7], s[0:1], 0x0
	s_lshl_b32 s2, s15, 7
	s_mov_b32 s3, 0
	v_dual_mov_b32 v2, 0 :: v_dual_lshlrev_b32 v1, 1, v0
	s_lshl_b64 s[8:9], s[2:3], 1
	v_lshlrev_b32_e32 v3, 2, v0
	v_or_b32_e32 v4, 0xffffff80, v0
	s_waitcnt lgkmcnt(0)
	s_add_u32 s4, s4, s8
	s_addc_u32 s5, s5, s9
	global_load_u16 v1, v1, s[4:5]
	s_mov_b32 s4, s3
.LBB22_1:                               ; =>This Inner Loop Header: Depth=1
	v_add_nc_u32_e32 v4, 0x80, v4
	ds_store_b32 v3, v2
	v_add_nc_u32_e32 v3, 0x200, v3
	v_cmp_lt_u32_e32 vcc_lo, 0x37f, v4
	s_or_b32 s4, vcc_lo, s4
	s_delay_alu instid0(SALU_CYCLE_1)
	s_and_not1_b32 exec_lo, exec_lo, s4
	s_cbranch_execnz .LBB22_1
; %bb.2:
	s_or_b32 exec_lo, exec_lo, s4
	s_waitcnt vmcnt(0)
	v_cmp_lt_i16_e32 vcc_lo, -1, v1
	s_load_b64 s[0:1], s[0:1], 0x10
	v_lshlrev_b32_e32 v3, 5, v0
	v_cndmask_b32_e64 v2, -1, 0xffff8000, vcc_lo
	s_delay_alu instid0(VALU_DEP_1) | instskip(NEXT) | instid1(VALU_DEP_1)
	v_xor_b32_e32 v1, v2, v1
	v_cmp_ne_u16_e32 vcc_lo, 0x7fff, v1
	v_cndmask_b32_e32 v1, 0xffff8000, v1, vcc_lo
	s_waitcnt lgkmcnt(0)
	s_and_b32 s1, s1, 31
	s_and_b32 s0, s0, 31
	s_delay_alu instid0(SALU_CYCLE_1)
	s_add_i32 s0, s0, s1
	v_and_b32_e32 v1, 0xffff, v1
	s_sub_i32 s0, 32, s0
	s_delay_alu instid0(VALU_DEP_1) | instid1(SALU_CYCLE_1)
	v_lshlrev_b32_e32 v1, s0, v1
	s_sub_i32 s0, 32, s1
	s_cmp_lg_u32 s1, 0
	s_cselect_b32 vcc_lo, -1, 0
	s_delay_alu instid0(VALU_DEP_1) | instskip(SKIP_1) | instid1(VALU_DEP_1)
	v_bfe_u32 v1, v1, s0, 16
	s_mov_b32 s0, exec_lo
	v_cndmask_b32_e32 v1, 0, v1, vcc_lo
	s_delay_alu instid0(VALU_DEP_1) | instskip(SKIP_1) | instid1(VALU_DEP_2)
	v_lshlrev_b32_e32 v2, 7, v1
	v_lshrrev_b32_e32 v1, 3, v1
	v_and_or_b32 v2, 0x380, v2, v0
	s_delay_alu instid0(VALU_DEP_1) | instskip(NEXT) | instid1(VALU_DEP_1)
	v_lshlrev_b32_e32 v2, 1, v2
	v_add_lshl_u32 v1, v2, v1, 1
	ds_load_u16 v2, v1
	s_waitcnt lgkmcnt(0)
	v_add_nc_u16 v4, v2, 1
	ds_store_b16 v1, v4
	s_waitcnt lgkmcnt(0)
	s_barrier
	buffer_gl0_inv
	ds_load_2addr_b32 v[4:5], v3 offset1:1
	ds_load_2addr_b32 v[6:7], v3 offset0:2 offset1:3
	ds_load_2addr_b32 v[8:9], v3 offset0:4 offset1:5
	;; [unrolled: 1-line block ×3, first 2 shown]
	s_waitcnt lgkmcnt(3)
	v_add_nc_u32_e32 v4, v5, v4
	s_waitcnt lgkmcnt(2)
	s_delay_alu instid0(VALU_DEP_1) | instskip(SKIP_1) | instid1(VALU_DEP_1)
	v_add3_u32 v4, v4, v6, v7
	s_waitcnt lgkmcnt(1)
	v_add3_u32 v5, v4, v8, v9
	v_mbcnt_lo_u32_b32 v4, -1, 0
	v_or_b32_e32 v8, 31, v0
	s_waitcnt lgkmcnt(0)
	s_delay_alu instid0(VALU_DEP_3) | instskip(NEXT) | instid1(VALU_DEP_3)
	v_add3_u32 v5, v5, v10, v11
	v_and_b32_e32 v6, 15, v4
	s_delay_alu instid0(VALU_DEP_2) | instskip(NEXT) | instid1(VALU_DEP_2)
	v_mov_b32_dpp v7, v5 row_shr:1 row_mask:0xf bank_mask:0xf
	v_cmp_ne_u32_e32 vcc_lo, 0, v6
	s_delay_alu instid0(VALU_DEP_2) | instskip(SKIP_1) | instid1(VALU_DEP_2)
	v_cndmask_b32_e32 v7, 0, v7, vcc_lo
	v_cmp_lt_u32_e32 vcc_lo, 1, v6
	v_add_nc_u32_e32 v5, v7, v5
	s_delay_alu instid0(VALU_DEP_1) | instskip(NEXT) | instid1(VALU_DEP_1)
	v_mov_b32_dpp v7, v5 row_shr:2 row_mask:0xf bank_mask:0xf
	v_cndmask_b32_e32 v7, 0, v7, vcc_lo
	v_cmp_lt_u32_e32 vcc_lo, 3, v6
	s_delay_alu instid0(VALU_DEP_2) | instskip(NEXT) | instid1(VALU_DEP_1)
	v_add_nc_u32_e32 v5, v5, v7
	v_mov_b32_dpp v7, v5 row_shr:4 row_mask:0xf bank_mask:0xf
	s_delay_alu instid0(VALU_DEP_1) | instskip(SKIP_1) | instid1(VALU_DEP_2)
	v_cndmask_b32_e32 v7, 0, v7, vcc_lo
	v_cmp_lt_u32_e32 vcc_lo, 7, v6
	v_add_nc_u32_e32 v5, v5, v7
	s_delay_alu instid0(VALU_DEP_1) | instskip(NEXT) | instid1(VALU_DEP_1)
	v_mov_b32_dpp v7, v5 row_shr:8 row_mask:0xf bank_mask:0xf
	v_cndmask_b32_e32 v6, 0, v7, vcc_lo
	v_bfe_i32 v7, v4, 4, 1
	s_delay_alu instid0(VALU_DEP_2) | instskip(SKIP_4) | instid1(VALU_DEP_2)
	v_add_nc_u32_e32 v5, v5, v6
	ds_swizzle_b32 v6, v5 offset:swizzle(BROADCAST,32,15)
	s_waitcnt lgkmcnt(0)
	v_and_b32_e32 v6, v7, v6
	v_lshrrev_b32_e32 v7, 5, v0
	v_add_nc_u32_e32 v6, v5, v6
	s_delay_alu instid0(VALU_DEP_2)
	v_lshlrev_b32_e32 v7, 2, v7
	v_cmpx_eq_u32_e64 v8, v0
	s_cbranch_execz .LBB22_4
; %bb.3:
	ds_store_b32 v7, v6 offset:4096
.LBB22_4:
	s_or_b32 exec_lo, exec_lo, s0
	v_lshlrev_b32_e32 v5, 2, v0
	s_mov_b32 s0, exec_lo
	s_waitcnt lgkmcnt(0)
	s_barrier
	buffer_gl0_inv
	v_cmpx_gt_u32_e32 4, v0
	s_cbranch_execz .LBB22_6
; %bb.5:
	ds_load_b32 v8, v5 offset:4096
	s_waitcnt lgkmcnt(0)
	v_mov_b32_dpp v10, v8 row_shr:1 row_mask:0xf bank_mask:0xf
	v_and_b32_e32 v9, 3, v4
	s_delay_alu instid0(VALU_DEP_1) | instskip(NEXT) | instid1(VALU_DEP_3)
	v_cmp_ne_u32_e32 vcc_lo, 0, v9
	v_cndmask_b32_e32 v10, 0, v10, vcc_lo
	v_cmp_lt_u32_e32 vcc_lo, 1, v9
	s_delay_alu instid0(VALU_DEP_2) | instskip(NEXT) | instid1(VALU_DEP_1)
	v_add_nc_u32_e32 v8, v10, v8
	v_mov_b32_dpp v10, v8 row_shr:2 row_mask:0xf bank_mask:0xf
	s_delay_alu instid0(VALU_DEP_1) | instskip(NEXT) | instid1(VALU_DEP_1)
	v_cndmask_b32_e32 v9, 0, v10, vcc_lo
	v_add_nc_u32_e32 v8, v8, v9
	ds_store_b32 v5, v8 offset:4096
.LBB22_6:
	s_or_b32 exec_lo, exec_lo, s0
	v_cmp_lt_u32_e32 vcc_lo, 31, v0
	v_mov_b32_e32 v8, 0
	v_mov_b32_e32 v0, 0
	s_waitcnt lgkmcnt(0)
	s_barrier
	buffer_gl0_inv
	s_and_saveexec_b32 s0, vcc_lo
	s_cbranch_execz .LBB22_8
; %bb.7:
	ds_load_b32 v0, v7 offset:4092
.LBB22_8:
	s_or_b32 exec_lo, exec_lo, s0
	v_add_nc_u32_e32 v7, -1, v4
	s_lshl_b64 s[0:1], s[2:3], 2
	s_waitcnt lgkmcnt(0)
	v_add_nc_u32_e32 v6, v0, v6
	s_add_u32 s0, s6, s0
	s_addc_u32 s1, s7, s1
	v_cmp_gt_i32_e32 vcc_lo, 0, v7
	v_cndmask_b32_e32 v7, v7, v4, vcc_lo
	v_cmp_eq_u32_e32 vcc_lo, 0, v4
	s_delay_alu instid0(VALU_DEP_2)
	v_lshlrev_b32_e32 v7, 2, v7
	ds_bpermute_b32 v9, v7, v6
	ds_load_b32 v10, v8 offset:4108
	ds_load_2addr_b32 v[6:7], v3 offset1:1
	s_waitcnt lgkmcnt(2)
	v_cndmask_b32_e32 v0, v9, v0, vcc_lo
	ds_load_2addr_b32 v[8:9], v3 offset0:2 offset1:3
	s_waitcnt lgkmcnt(2)
	v_lshl_add_u32 v0, v10, 16, v0
	ds_load_2addr_b32 v[10:11], v3 offset0:4 offset1:5
	ds_load_b32 v4, v3 offset:24
	s_waitcnt lgkmcnt(3)
	v_add_nc_u32_e32 v6, v0, v6
	s_delay_alu instid0(VALU_DEP_1) | instskip(SKIP_1) | instid1(VALU_DEP_1)
	v_add_nc_u32_e32 v7, v7, v6
	s_waitcnt lgkmcnt(2)
	v_add_nc_u32_e32 v8, v8, v7
	s_delay_alu instid0(VALU_DEP_1) | instskip(SKIP_1) | instid1(VALU_DEP_1)
	v_add_nc_u32_e32 v9, v9, v8
	;; [unrolled: 4-line block ×3, first 2 shown]
	s_waitcnt lgkmcnt(0)
	v_add_nc_u32_e32 v4, v4, v11
	ds_store_2addr_b32 v3, v0, v6 offset1:1
	ds_store_2addr_b32 v3, v7, v8 offset0:2 offset1:3
	ds_store_2addr_b32 v3, v9, v10 offset0:4 offset1:5
	;; [unrolled: 1-line block ×3, first 2 shown]
	s_waitcnt lgkmcnt(0)
	s_barrier
	buffer_gl0_inv
	ds_load_u16 v0, v1
	v_and_b32_e32 v1, 0xffff, v2
	s_waitcnt lgkmcnt(0)
	s_delay_alu instid0(VALU_DEP_1)
	v_add_nc_u32_e32 v0, v0, v1
	global_store_b32 v5, v0, s[0:1]
	s_nop 0
	s_sendmsg sendmsg(MSG_DEALLOC_VGPRS)
	s_endpgm
	.section	.rodata,"a",@progbits
	.p2align	6, 0x0
	.amdhsa_kernel _Z11rank_kernelILj128ELj1ELj4ELb0EL18RadixRankAlgorithm0E12hip_bfloat16EvPKT4_Pijj
		.amdhsa_group_segment_fixed_size 4112
		.amdhsa_private_segment_fixed_size 0
		.amdhsa_kernarg_size 24
		.amdhsa_user_sgpr_count 15
		.amdhsa_user_sgpr_dispatch_ptr 0
		.amdhsa_user_sgpr_queue_ptr 0
		.amdhsa_user_sgpr_kernarg_segment_ptr 1
		.amdhsa_user_sgpr_dispatch_id 0
		.amdhsa_user_sgpr_private_segment_size 0
		.amdhsa_wavefront_size32 1
		.amdhsa_uses_dynamic_stack 0
		.amdhsa_enable_private_segment 0
		.amdhsa_system_sgpr_workgroup_id_x 1
		.amdhsa_system_sgpr_workgroup_id_y 0
		.amdhsa_system_sgpr_workgroup_id_z 0
		.amdhsa_system_sgpr_workgroup_info 0
		.amdhsa_system_vgpr_workitem_id 0
		.amdhsa_next_free_vgpr 12
		.amdhsa_next_free_sgpr 16
		.amdhsa_reserve_vcc 1
		.amdhsa_float_round_mode_32 0
		.amdhsa_float_round_mode_16_64 0
		.amdhsa_float_denorm_mode_32 3
		.amdhsa_float_denorm_mode_16_64 3
		.amdhsa_dx10_clamp 1
		.amdhsa_ieee_mode 1
		.amdhsa_fp16_overflow 0
		.amdhsa_workgroup_processor_mode 1
		.amdhsa_memory_ordered 1
		.amdhsa_forward_progress 0
		.amdhsa_shared_vgpr_count 0
		.amdhsa_exception_fp_ieee_invalid_op 0
		.amdhsa_exception_fp_denorm_src 0
		.amdhsa_exception_fp_ieee_div_zero 0
		.amdhsa_exception_fp_ieee_overflow 0
		.amdhsa_exception_fp_ieee_underflow 0
		.amdhsa_exception_fp_ieee_inexact 0
		.amdhsa_exception_int_div_zero 0
	.end_amdhsa_kernel
	.section	.text._Z11rank_kernelILj128ELj1ELj4ELb0EL18RadixRankAlgorithm0E12hip_bfloat16EvPKT4_Pijj,"axG",@progbits,_Z11rank_kernelILj128ELj1ELj4ELb0EL18RadixRankAlgorithm0E12hip_bfloat16EvPKT4_Pijj,comdat
.Lfunc_end22:
	.size	_Z11rank_kernelILj128ELj1ELj4ELb0EL18RadixRankAlgorithm0E12hip_bfloat16EvPKT4_Pijj, .Lfunc_end22-_Z11rank_kernelILj128ELj1ELj4ELb0EL18RadixRankAlgorithm0E12hip_bfloat16EvPKT4_Pijj
                                        ; -- End function
	.section	.AMDGPU.csdata,"",@progbits
; Kernel info:
; codeLenInByte = 1024
; NumSgprs: 18
; NumVgprs: 12
; ScratchSize: 0
; MemoryBound: 0
; FloatMode: 240
; IeeeMode: 1
; LDSByteSize: 4112 bytes/workgroup (compile time only)
; SGPRBlocks: 2
; VGPRBlocks: 1
; NumSGPRsForWavesPerEU: 18
; NumVGPRsForWavesPerEU: 12
; Occupancy: 16
; WaveLimiterHint : 0
; COMPUTE_PGM_RSRC2:SCRATCH_EN: 0
; COMPUTE_PGM_RSRC2:USER_SGPR: 15
; COMPUTE_PGM_RSRC2:TRAP_HANDLER: 0
; COMPUTE_PGM_RSRC2:TGID_X_EN: 1
; COMPUTE_PGM_RSRC2:TGID_Y_EN: 0
; COMPUTE_PGM_RSRC2:TGID_Z_EN: 0
; COMPUTE_PGM_RSRC2:TIDIG_COMP_CNT: 0
	.section	.text._Z11rank_kernelILj128ELj1ELj4ELb0EL18RadixRankAlgorithm0E6__halfEvPKT4_Pijj,"axG",@progbits,_Z11rank_kernelILj128ELj1ELj4ELb0EL18RadixRankAlgorithm0E6__halfEvPKT4_Pijj,comdat
	.protected	_Z11rank_kernelILj128ELj1ELj4ELb0EL18RadixRankAlgorithm0E6__halfEvPKT4_Pijj ; -- Begin function _Z11rank_kernelILj128ELj1ELj4ELb0EL18RadixRankAlgorithm0E6__halfEvPKT4_Pijj
	.globl	_Z11rank_kernelILj128ELj1ELj4ELb0EL18RadixRankAlgorithm0E6__halfEvPKT4_Pijj
	.p2align	8
	.type	_Z11rank_kernelILj128ELj1ELj4ELb0EL18RadixRankAlgorithm0E6__halfEvPKT4_Pijj,@function
_Z11rank_kernelILj128ELj1ELj4ELb0EL18RadixRankAlgorithm0E6__halfEvPKT4_Pijj: ; @_Z11rank_kernelILj128ELj1ELj4ELb0EL18RadixRankAlgorithm0E6__halfEvPKT4_Pijj
; %bb.0:
	s_load_b128 s[4:7], s[0:1], 0x0
	s_lshl_b32 s2, s15, 7
	s_mov_b32 s3, 0
	v_dual_mov_b32 v2, 0 :: v_dual_lshlrev_b32 v1, 1, v0
	s_lshl_b64 s[8:9], s[2:3], 1
	v_lshlrev_b32_e32 v3, 2, v0
	v_or_b32_e32 v4, 0xffffff80, v0
	s_waitcnt lgkmcnt(0)
	s_add_u32 s4, s4, s8
	s_addc_u32 s5, s5, s9
	global_load_u16 v1, v1, s[4:5]
	s_mov_b32 s4, s3
.LBB23_1:                               ; =>This Inner Loop Header: Depth=1
	v_add_nc_u32_e32 v4, 0x80, v4
	ds_store_b32 v3, v2
	v_add_nc_u32_e32 v3, 0x200, v3
	v_cmp_lt_u32_e32 vcc_lo, 0x37f, v4
	s_or_b32 s4, vcc_lo, s4
	s_delay_alu instid0(SALU_CYCLE_1)
	s_and_not1_b32 exec_lo, exec_lo, s4
	s_cbranch_execnz .LBB23_1
; %bb.2:
	s_or_b32 exec_lo, exec_lo, s4
	s_waitcnt vmcnt(0)
	v_cmp_lt_i16_e32 vcc_lo, -1, v1
	s_load_b64 s[0:1], s[0:1], 0x10
	v_lshlrev_b32_e32 v3, 5, v0
	v_cndmask_b32_e64 v2, -1, 0xffff8000, vcc_lo
	s_delay_alu instid0(VALU_DEP_1) | instskip(NEXT) | instid1(VALU_DEP_1)
	v_xor_b32_e32 v1, v2, v1
	v_cmp_ne_u16_e32 vcc_lo, 0x7fff, v1
	v_cndmask_b32_e32 v1, 0xffff8000, v1, vcc_lo
	s_waitcnt lgkmcnt(0)
	s_and_b32 s1, s1, 31
	s_and_b32 s0, s0, 31
	s_delay_alu instid0(SALU_CYCLE_1)
	s_add_i32 s0, s0, s1
	v_and_b32_e32 v1, 0xffff, v1
	s_sub_i32 s0, 32, s0
	s_delay_alu instid0(VALU_DEP_1) | instid1(SALU_CYCLE_1)
	v_lshlrev_b32_e32 v1, s0, v1
	s_sub_i32 s0, 32, s1
	s_cmp_lg_u32 s1, 0
	s_cselect_b32 vcc_lo, -1, 0
	s_delay_alu instid0(VALU_DEP_1) | instskip(SKIP_1) | instid1(VALU_DEP_1)
	v_bfe_u32 v1, v1, s0, 16
	s_mov_b32 s0, exec_lo
	v_cndmask_b32_e32 v1, 0, v1, vcc_lo
	s_delay_alu instid0(VALU_DEP_1) | instskip(SKIP_1) | instid1(VALU_DEP_2)
	v_lshlrev_b32_e32 v2, 7, v1
	v_lshrrev_b32_e32 v1, 3, v1
	v_and_or_b32 v2, 0x380, v2, v0
	s_delay_alu instid0(VALU_DEP_1) | instskip(NEXT) | instid1(VALU_DEP_1)
	v_lshlrev_b32_e32 v2, 1, v2
	v_add_lshl_u32 v1, v2, v1, 1
	ds_load_u16 v2, v1
	s_waitcnt lgkmcnt(0)
	v_add_nc_u16 v4, v2, 1
	ds_store_b16 v1, v4
	s_waitcnt lgkmcnt(0)
	s_barrier
	buffer_gl0_inv
	ds_load_2addr_b32 v[4:5], v3 offset1:1
	ds_load_2addr_b32 v[6:7], v3 offset0:2 offset1:3
	ds_load_2addr_b32 v[8:9], v3 offset0:4 offset1:5
	;; [unrolled: 1-line block ×3, first 2 shown]
	s_waitcnt lgkmcnt(3)
	v_add_nc_u32_e32 v4, v5, v4
	s_waitcnt lgkmcnt(2)
	s_delay_alu instid0(VALU_DEP_1) | instskip(SKIP_1) | instid1(VALU_DEP_1)
	v_add3_u32 v4, v4, v6, v7
	s_waitcnt lgkmcnt(1)
	v_add3_u32 v5, v4, v8, v9
	v_mbcnt_lo_u32_b32 v4, -1, 0
	v_or_b32_e32 v8, 31, v0
	s_waitcnt lgkmcnt(0)
	s_delay_alu instid0(VALU_DEP_3) | instskip(NEXT) | instid1(VALU_DEP_3)
	v_add3_u32 v5, v5, v10, v11
	v_and_b32_e32 v6, 15, v4
	s_delay_alu instid0(VALU_DEP_2) | instskip(NEXT) | instid1(VALU_DEP_2)
	v_mov_b32_dpp v7, v5 row_shr:1 row_mask:0xf bank_mask:0xf
	v_cmp_ne_u32_e32 vcc_lo, 0, v6
	s_delay_alu instid0(VALU_DEP_2) | instskip(SKIP_1) | instid1(VALU_DEP_2)
	v_cndmask_b32_e32 v7, 0, v7, vcc_lo
	v_cmp_lt_u32_e32 vcc_lo, 1, v6
	v_add_nc_u32_e32 v5, v7, v5
	s_delay_alu instid0(VALU_DEP_1) | instskip(NEXT) | instid1(VALU_DEP_1)
	v_mov_b32_dpp v7, v5 row_shr:2 row_mask:0xf bank_mask:0xf
	v_cndmask_b32_e32 v7, 0, v7, vcc_lo
	v_cmp_lt_u32_e32 vcc_lo, 3, v6
	s_delay_alu instid0(VALU_DEP_2) | instskip(NEXT) | instid1(VALU_DEP_1)
	v_add_nc_u32_e32 v5, v5, v7
	v_mov_b32_dpp v7, v5 row_shr:4 row_mask:0xf bank_mask:0xf
	s_delay_alu instid0(VALU_DEP_1) | instskip(SKIP_1) | instid1(VALU_DEP_2)
	v_cndmask_b32_e32 v7, 0, v7, vcc_lo
	v_cmp_lt_u32_e32 vcc_lo, 7, v6
	v_add_nc_u32_e32 v5, v5, v7
	s_delay_alu instid0(VALU_DEP_1) | instskip(NEXT) | instid1(VALU_DEP_1)
	v_mov_b32_dpp v7, v5 row_shr:8 row_mask:0xf bank_mask:0xf
	v_cndmask_b32_e32 v6, 0, v7, vcc_lo
	v_bfe_i32 v7, v4, 4, 1
	s_delay_alu instid0(VALU_DEP_2) | instskip(SKIP_4) | instid1(VALU_DEP_2)
	v_add_nc_u32_e32 v5, v5, v6
	ds_swizzle_b32 v6, v5 offset:swizzle(BROADCAST,32,15)
	s_waitcnt lgkmcnt(0)
	v_and_b32_e32 v6, v7, v6
	v_lshrrev_b32_e32 v7, 5, v0
	v_add_nc_u32_e32 v6, v5, v6
	s_delay_alu instid0(VALU_DEP_2)
	v_lshlrev_b32_e32 v7, 2, v7
	v_cmpx_eq_u32_e64 v8, v0
	s_cbranch_execz .LBB23_4
; %bb.3:
	ds_store_b32 v7, v6 offset:4096
.LBB23_4:
	s_or_b32 exec_lo, exec_lo, s0
	v_lshlrev_b32_e32 v5, 2, v0
	s_mov_b32 s0, exec_lo
	s_waitcnt lgkmcnt(0)
	s_barrier
	buffer_gl0_inv
	v_cmpx_gt_u32_e32 4, v0
	s_cbranch_execz .LBB23_6
; %bb.5:
	ds_load_b32 v8, v5 offset:4096
	s_waitcnt lgkmcnt(0)
	v_mov_b32_dpp v10, v8 row_shr:1 row_mask:0xf bank_mask:0xf
	v_and_b32_e32 v9, 3, v4
	s_delay_alu instid0(VALU_DEP_1) | instskip(NEXT) | instid1(VALU_DEP_3)
	v_cmp_ne_u32_e32 vcc_lo, 0, v9
	v_cndmask_b32_e32 v10, 0, v10, vcc_lo
	v_cmp_lt_u32_e32 vcc_lo, 1, v9
	s_delay_alu instid0(VALU_DEP_2) | instskip(NEXT) | instid1(VALU_DEP_1)
	v_add_nc_u32_e32 v8, v10, v8
	v_mov_b32_dpp v10, v8 row_shr:2 row_mask:0xf bank_mask:0xf
	s_delay_alu instid0(VALU_DEP_1) | instskip(NEXT) | instid1(VALU_DEP_1)
	v_cndmask_b32_e32 v9, 0, v10, vcc_lo
	v_add_nc_u32_e32 v8, v8, v9
	ds_store_b32 v5, v8 offset:4096
.LBB23_6:
	s_or_b32 exec_lo, exec_lo, s0
	v_cmp_lt_u32_e32 vcc_lo, 31, v0
	v_mov_b32_e32 v8, 0
	v_mov_b32_e32 v0, 0
	s_waitcnt lgkmcnt(0)
	s_barrier
	buffer_gl0_inv
	s_and_saveexec_b32 s0, vcc_lo
	s_cbranch_execz .LBB23_8
; %bb.7:
	ds_load_b32 v0, v7 offset:4092
.LBB23_8:
	s_or_b32 exec_lo, exec_lo, s0
	v_add_nc_u32_e32 v7, -1, v4
	s_lshl_b64 s[0:1], s[2:3], 2
	s_waitcnt lgkmcnt(0)
	v_add_nc_u32_e32 v6, v0, v6
	s_add_u32 s0, s6, s0
	s_addc_u32 s1, s7, s1
	v_cmp_gt_i32_e32 vcc_lo, 0, v7
	v_cndmask_b32_e32 v7, v7, v4, vcc_lo
	v_cmp_eq_u32_e32 vcc_lo, 0, v4
	s_delay_alu instid0(VALU_DEP_2)
	v_lshlrev_b32_e32 v7, 2, v7
	ds_bpermute_b32 v9, v7, v6
	ds_load_b32 v10, v8 offset:4108
	ds_load_2addr_b32 v[6:7], v3 offset1:1
	s_waitcnt lgkmcnt(2)
	v_cndmask_b32_e32 v0, v9, v0, vcc_lo
	ds_load_2addr_b32 v[8:9], v3 offset0:2 offset1:3
	s_waitcnt lgkmcnt(2)
	v_lshl_add_u32 v0, v10, 16, v0
	ds_load_2addr_b32 v[10:11], v3 offset0:4 offset1:5
	ds_load_b32 v4, v3 offset:24
	s_waitcnt lgkmcnt(3)
	v_add_nc_u32_e32 v6, v0, v6
	s_delay_alu instid0(VALU_DEP_1) | instskip(SKIP_1) | instid1(VALU_DEP_1)
	v_add_nc_u32_e32 v7, v7, v6
	s_waitcnt lgkmcnt(2)
	v_add_nc_u32_e32 v8, v8, v7
	s_delay_alu instid0(VALU_DEP_1) | instskip(SKIP_1) | instid1(VALU_DEP_1)
	v_add_nc_u32_e32 v9, v9, v8
	;; [unrolled: 4-line block ×3, first 2 shown]
	s_waitcnt lgkmcnt(0)
	v_add_nc_u32_e32 v4, v4, v11
	ds_store_2addr_b32 v3, v0, v6 offset1:1
	ds_store_2addr_b32 v3, v7, v8 offset0:2 offset1:3
	ds_store_2addr_b32 v3, v9, v10 offset0:4 offset1:5
	;; [unrolled: 1-line block ×3, first 2 shown]
	s_waitcnt lgkmcnt(0)
	s_barrier
	buffer_gl0_inv
	ds_load_u16 v0, v1
	v_and_b32_e32 v1, 0xffff, v2
	s_waitcnt lgkmcnt(0)
	s_delay_alu instid0(VALU_DEP_1)
	v_add_nc_u32_e32 v0, v0, v1
	global_store_b32 v5, v0, s[0:1]
	s_nop 0
	s_sendmsg sendmsg(MSG_DEALLOC_VGPRS)
	s_endpgm
	.section	.rodata,"a",@progbits
	.p2align	6, 0x0
	.amdhsa_kernel _Z11rank_kernelILj128ELj1ELj4ELb0EL18RadixRankAlgorithm0E6__halfEvPKT4_Pijj
		.amdhsa_group_segment_fixed_size 4112
		.amdhsa_private_segment_fixed_size 0
		.amdhsa_kernarg_size 24
		.amdhsa_user_sgpr_count 15
		.amdhsa_user_sgpr_dispatch_ptr 0
		.amdhsa_user_sgpr_queue_ptr 0
		.amdhsa_user_sgpr_kernarg_segment_ptr 1
		.amdhsa_user_sgpr_dispatch_id 0
		.amdhsa_user_sgpr_private_segment_size 0
		.amdhsa_wavefront_size32 1
		.amdhsa_uses_dynamic_stack 0
		.amdhsa_enable_private_segment 0
		.amdhsa_system_sgpr_workgroup_id_x 1
		.amdhsa_system_sgpr_workgroup_id_y 0
		.amdhsa_system_sgpr_workgroup_id_z 0
		.amdhsa_system_sgpr_workgroup_info 0
		.amdhsa_system_vgpr_workitem_id 0
		.amdhsa_next_free_vgpr 12
		.amdhsa_next_free_sgpr 16
		.amdhsa_reserve_vcc 1
		.amdhsa_float_round_mode_32 0
		.amdhsa_float_round_mode_16_64 0
		.amdhsa_float_denorm_mode_32 3
		.amdhsa_float_denorm_mode_16_64 3
		.amdhsa_dx10_clamp 1
		.amdhsa_ieee_mode 1
		.amdhsa_fp16_overflow 0
		.amdhsa_workgroup_processor_mode 1
		.amdhsa_memory_ordered 1
		.amdhsa_forward_progress 0
		.amdhsa_shared_vgpr_count 0
		.amdhsa_exception_fp_ieee_invalid_op 0
		.amdhsa_exception_fp_denorm_src 0
		.amdhsa_exception_fp_ieee_div_zero 0
		.amdhsa_exception_fp_ieee_overflow 0
		.amdhsa_exception_fp_ieee_underflow 0
		.amdhsa_exception_fp_ieee_inexact 0
		.amdhsa_exception_int_div_zero 0
	.end_amdhsa_kernel
	.section	.text._Z11rank_kernelILj128ELj1ELj4ELb0EL18RadixRankAlgorithm0E6__halfEvPKT4_Pijj,"axG",@progbits,_Z11rank_kernelILj128ELj1ELj4ELb0EL18RadixRankAlgorithm0E6__halfEvPKT4_Pijj,comdat
.Lfunc_end23:
	.size	_Z11rank_kernelILj128ELj1ELj4ELb0EL18RadixRankAlgorithm0E6__halfEvPKT4_Pijj, .Lfunc_end23-_Z11rank_kernelILj128ELj1ELj4ELb0EL18RadixRankAlgorithm0E6__halfEvPKT4_Pijj
                                        ; -- End function
	.section	.AMDGPU.csdata,"",@progbits
; Kernel info:
; codeLenInByte = 1024
; NumSgprs: 18
; NumVgprs: 12
; ScratchSize: 0
; MemoryBound: 0
; FloatMode: 240
; IeeeMode: 1
; LDSByteSize: 4112 bytes/workgroup (compile time only)
; SGPRBlocks: 2
; VGPRBlocks: 1
; NumSGPRsForWavesPerEU: 18
; NumVGPRsForWavesPerEU: 12
; Occupancy: 16
; WaveLimiterHint : 0
; COMPUTE_PGM_RSRC2:SCRATCH_EN: 0
; COMPUTE_PGM_RSRC2:USER_SGPR: 15
; COMPUTE_PGM_RSRC2:TRAP_HANDLER: 0
; COMPUTE_PGM_RSRC2:TGID_X_EN: 1
; COMPUTE_PGM_RSRC2:TGID_Y_EN: 0
; COMPUTE_PGM_RSRC2:TGID_Z_EN: 0
; COMPUTE_PGM_RSRC2:TIDIG_COMP_CNT: 0
	.section	.text._Z11rank_kernelILj64ELj1ELj4ELb0EL18RadixRankAlgorithm0EjEvPKT4_Pijj,"axG",@progbits,_Z11rank_kernelILj64ELj1ELj4ELb0EL18RadixRankAlgorithm0EjEvPKT4_Pijj,comdat
	.protected	_Z11rank_kernelILj64ELj1ELj4ELb0EL18RadixRankAlgorithm0EjEvPKT4_Pijj ; -- Begin function _Z11rank_kernelILj64ELj1ELj4ELb0EL18RadixRankAlgorithm0EjEvPKT4_Pijj
	.globl	_Z11rank_kernelILj64ELj1ELj4ELb0EL18RadixRankAlgorithm0EjEvPKT4_Pijj
	.p2align	8
	.type	_Z11rank_kernelILj64ELj1ELj4ELb0EL18RadixRankAlgorithm0EjEvPKT4_Pijj,@function
_Z11rank_kernelILj64ELj1ELj4ELb0EL18RadixRankAlgorithm0EjEvPKT4_Pijj: ; @_Z11rank_kernelILj64ELj1ELj4ELb0EL18RadixRankAlgorithm0EjEvPKT4_Pijj
; %bb.0:
	s_load_b128 s[4:7], s[0:1], 0x0
	s_lshl_b32 s8, s15, 6
	s_mov_b32 s9, 0
	v_lshlrev_b32_e32 v1, 2, v0
	s_lshl_b64 s[2:3], s[8:9], 2
	s_waitcnt lgkmcnt(0)
	s_add_u32 s4, s4, s2
	s_addc_u32 s5, s5, s3
	global_load_b32 v2, v1, s[4:5]
	s_mov_b32 s4, exec_lo
	v_cmpx_gt_u32_e32 0x200, v0
	s_cbranch_execz .LBB24_3
; %bb.1:
	v_or_b32_e32 v3, 0xffffffc0, v0
	v_dual_mov_b32 v4, 0 :: v_dual_mov_b32 v5, v1
.LBB24_2:                               ; =>This Inner Loop Header: Depth=1
	s_delay_alu instid0(VALU_DEP_2) | instskip(SKIP_4) | instid1(SALU_CYCLE_1)
	v_add_nc_u32_e32 v3, 64, v3
	ds_store_b32 v5, v4
	v_add_nc_u32_e32 v5, 0x100, v5
	v_cmp_lt_u32_e32 vcc_lo, 0x1bf, v3
	s_or_b32 s9, vcc_lo, s9
	s_and_not1_b32 exec_lo, exec_lo, s9
	s_cbranch_execnz .LBB24_2
.LBB24_3:
	s_or_b32 exec_lo, exec_lo, s4
	s_load_b64 s[0:1], s[0:1], 0x10
	v_lshlrev_b32_e32 v4, 5, v0
	s_waitcnt lgkmcnt(0)
	s_and_b32 s1, s1, 31
	s_and_b32 s0, s0, 31
	s_delay_alu instid0(SALU_CYCLE_1) | instskip(NEXT) | instid1(SALU_CYCLE_1)
	s_add_i32 s0, s0, s1
	s_sub_i32 s0, 32, s0
	s_waitcnt vmcnt(0)
	v_lshlrev_b32_e32 v2, s0, v2
	s_sub_i32 s0, 32, s1
	s_cmp_lg_u32 s1, 0
	s_cselect_b32 vcc_lo, -1, 0
	s_delay_alu instid0(VALU_DEP_1) | instskip(SKIP_1) | instid1(VALU_DEP_1)
	v_lshrrev_b32_e32 v2, s0, v2
	s_mov_b32 s0, exec_lo
	v_cndmask_b32_e32 v2, 0, v2, vcc_lo
	s_delay_alu instid0(VALU_DEP_1) | instskip(NEXT) | instid1(VALU_DEP_1)
	v_lshlrev_b32_e32 v3, 6, v2
	v_and_or_b32 v3, 0x1c0, v3, v0
	s_delay_alu instid0(VALU_DEP_1) | instskip(SKIP_1) | instid1(VALU_DEP_1)
	v_lshlrev_b32_e32 v3, 1, v3
	v_lshrrev_b32_e32 v2, 3, v2
	v_add_lshl_u32 v2, v3, v2, 1
	ds_load_u16 v3, v2
	s_waitcnt lgkmcnt(0)
	v_add_nc_u16 v5, v3, 1
	ds_store_b16 v2, v5
	s_waitcnt lgkmcnt(0)
	s_barrier
	buffer_gl0_inv
	ds_load_2addr_b32 v[5:6], v4 offset1:1
	ds_load_2addr_b32 v[7:8], v4 offset0:2 offset1:3
	ds_load_2addr_b32 v[9:10], v4 offset0:4 offset1:5
	ds_load_2addr_b32 v[11:12], v4 offset0:6 offset1:7
	s_waitcnt lgkmcnt(3)
	v_add_nc_u32_e32 v5, v6, v5
	s_waitcnt lgkmcnt(2)
	s_delay_alu instid0(VALU_DEP_1) | instskip(SKIP_1) | instid1(VALU_DEP_1)
	v_add3_u32 v5, v5, v7, v8
	s_waitcnt lgkmcnt(1)
	v_add3_u32 v6, v5, v9, v10
	v_mbcnt_lo_u32_b32 v5, -1, 0
	v_or_b32_e32 v9, 31, v0
	s_waitcnt lgkmcnt(0)
	s_delay_alu instid0(VALU_DEP_3) | instskip(NEXT) | instid1(VALU_DEP_3)
	v_add3_u32 v6, v6, v11, v12
	v_and_b32_e32 v7, 15, v5
	s_delay_alu instid0(VALU_DEP_2) | instskip(NEXT) | instid1(VALU_DEP_2)
	v_mov_b32_dpp v8, v6 row_shr:1 row_mask:0xf bank_mask:0xf
	v_cmp_ne_u32_e32 vcc_lo, 0, v7
	s_delay_alu instid0(VALU_DEP_2) | instskip(SKIP_1) | instid1(VALU_DEP_2)
	v_cndmask_b32_e32 v8, 0, v8, vcc_lo
	v_cmp_lt_u32_e32 vcc_lo, 1, v7
	v_add_nc_u32_e32 v6, v8, v6
	s_delay_alu instid0(VALU_DEP_1) | instskip(NEXT) | instid1(VALU_DEP_1)
	v_mov_b32_dpp v8, v6 row_shr:2 row_mask:0xf bank_mask:0xf
	v_cndmask_b32_e32 v8, 0, v8, vcc_lo
	v_cmp_lt_u32_e32 vcc_lo, 3, v7
	s_delay_alu instid0(VALU_DEP_2) | instskip(NEXT) | instid1(VALU_DEP_1)
	v_add_nc_u32_e32 v6, v6, v8
	v_mov_b32_dpp v8, v6 row_shr:4 row_mask:0xf bank_mask:0xf
	s_delay_alu instid0(VALU_DEP_1) | instskip(SKIP_1) | instid1(VALU_DEP_2)
	v_cndmask_b32_e32 v8, 0, v8, vcc_lo
	v_cmp_lt_u32_e32 vcc_lo, 7, v7
	v_add_nc_u32_e32 v6, v6, v8
	s_delay_alu instid0(VALU_DEP_1) | instskip(NEXT) | instid1(VALU_DEP_1)
	v_mov_b32_dpp v8, v6 row_shr:8 row_mask:0xf bank_mask:0xf
	v_cndmask_b32_e32 v7, 0, v8, vcc_lo
	v_bfe_i32 v8, v5, 4, 1
	s_delay_alu instid0(VALU_DEP_2) | instskip(SKIP_4) | instid1(VALU_DEP_2)
	v_add_nc_u32_e32 v6, v6, v7
	ds_swizzle_b32 v7, v6 offset:swizzle(BROADCAST,32,15)
	s_waitcnt lgkmcnt(0)
	v_and_b32_e32 v7, v8, v7
	v_lshrrev_b32_e32 v8, 5, v0
	v_add_nc_u32_e32 v6, v6, v7
	s_delay_alu instid0(VALU_DEP_2)
	v_lshlrev_b32_e32 v7, 2, v8
	v_cmpx_eq_u32_e64 v9, v0
	s_cbranch_execz .LBB24_5
; %bb.4:
	ds_store_b32 v7, v6 offset:2048
.LBB24_5:
	s_or_b32 exec_lo, exec_lo, s0
	s_delay_alu instid0(SALU_CYCLE_1)
	s_mov_b32 s0, exec_lo
	s_waitcnt lgkmcnt(0)
	s_barrier
	buffer_gl0_inv
	v_cmpx_gt_u32_e32 2, v0
	s_cbranch_execz .LBB24_7
; %bb.6:
	ds_load_b32 v8, v1 offset:2048
	v_bfe_i32 v9, v5, 0, 1
	s_waitcnt lgkmcnt(0)
	v_mov_b32_dpp v10, v8 row_shr:1 row_mask:0xf bank_mask:0xf
	s_delay_alu instid0(VALU_DEP_1) | instskip(NEXT) | instid1(VALU_DEP_1)
	v_and_b32_e32 v9, v9, v10
	v_add_nc_u32_e32 v8, v9, v8
	ds_store_b32 v1, v8 offset:2048
.LBB24_7:
	s_or_b32 exec_lo, exec_lo, s0
	v_cmp_lt_u32_e32 vcc_lo, 31, v0
	v_mov_b32_e32 v8, 0
	v_mov_b32_e32 v0, 0
	s_waitcnt lgkmcnt(0)
	s_barrier
	buffer_gl0_inv
	s_and_saveexec_b32 s0, vcc_lo
	s_cbranch_execz .LBB24_9
; %bb.8:
	ds_load_b32 v0, v7 offset:2044
.LBB24_9:
	s_or_b32 exec_lo, exec_lo, s0
	v_add_nc_u32_e32 v7, -1, v5
	s_add_u32 s0, s6, s2
	s_addc_u32 s1, s7, s3
	s_waitcnt lgkmcnt(0)
	v_add_nc_u32_e32 v6, v0, v6
	v_cmp_gt_i32_e32 vcc_lo, 0, v7
	v_cndmask_b32_e32 v7, v7, v5, vcc_lo
	v_cmp_eq_u32_e32 vcc_lo, 0, v5
	s_delay_alu instid0(VALU_DEP_2)
	v_lshlrev_b32_e32 v7, 2, v7
	ds_bpermute_b32 v9, v7, v6
	ds_load_b32 v10, v8 offset:2052
	ds_load_2addr_b32 v[6:7], v4 offset1:1
	s_waitcnt lgkmcnt(2)
	v_cndmask_b32_e32 v0, v9, v0, vcc_lo
	ds_load_2addr_b32 v[8:9], v4 offset0:2 offset1:3
	s_waitcnt lgkmcnt(2)
	v_lshl_add_u32 v0, v10, 16, v0
	ds_load_2addr_b32 v[10:11], v4 offset0:4 offset1:5
	ds_load_b32 v5, v4 offset:24
	s_waitcnt lgkmcnt(3)
	v_add_nc_u32_e32 v6, v0, v6
	s_delay_alu instid0(VALU_DEP_1) | instskip(SKIP_1) | instid1(VALU_DEP_1)
	v_add_nc_u32_e32 v7, v7, v6
	s_waitcnt lgkmcnt(2)
	v_add_nc_u32_e32 v8, v8, v7
	s_delay_alu instid0(VALU_DEP_1) | instskip(SKIP_1) | instid1(VALU_DEP_1)
	v_add_nc_u32_e32 v9, v9, v8
	;; [unrolled: 4-line block ×3, first 2 shown]
	s_waitcnt lgkmcnt(0)
	v_add_nc_u32_e32 v5, v5, v11
	ds_store_2addr_b32 v4, v0, v6 offset1:1
	ds_store_2addr_b32 v4, v7, v8 offset0:2 offset1:3
	ds_store_2addr_b32 v4, v9, v10 offset0:4 offset1:5
	;; [unrolled: 1-line block ×3, first 2 shown]
	s_waitcnt lgkmcnt(0)
	s_barrier
	buffer_gl0_inv
	ds_load_u16 v0, v2
	v_and_b32_e32 v2, 0xffff, v3
	s_waitcnt lgkmcnt(0)
	s_delay_alu instid0(VALU_DEP_1)
	v_add_nc_u32_e32 v0, v0, v2
	global_store_b32 v1, v0, s[0:1]
	s_nop 0
	s_sendmsg sendmsg(MSG_DEALLOC_VGPRS)
	s_endpgm
	.section	.rodata,"a",@progbits
	.p2align	6, 0x0
	.amdhsa_kernel _Z11rank_kernelILj64ELj1ELj4ELb0EL18RadixRankAlgorithm0EjEvPKT4_Pijj
		.amdhsa_group_segment_fixed_size 2064
		.amdhsa_private_segment_fixed_size 0
		.amdhsa_kernarg_size 24
		.amdhsa_user_sgpr_count 15
		.amdhsa_user_sgpr_dispatch_ptr 0
		.amdhsa_user_sgpr_queue_ptr 0
		.amdhsa_user_sgpr_kernarg_segment_ptr 1
		.amdhsa_user_sgpr_dispatch_id 0
		.amdhsa_user_sgpr_private_segment_size 0
		.amdhsa_wavefront_size32 1
		.amdhsa_uses_dynamic_stack 0
		.amdhsa_enable_private_segment 0
		.amdhsa_system_sgpr_workgroup_id_x 1
		.amdhsa_system_sgpr_workgroup_id_y 0
		.amdhsa_system_sgpr_workgroup_id_z 0
		.amdhsa_system_sgpr_workgroup_info 0
		.amdhsa_system_vgpr_workitem_id 0
		.amdhsa_next_free_vgpr 13
		.amdhsa_next_free_sgpr 16
		.amdhsa_reserve_vcc 1
		.amdhsa_float_round_mode_32 0
		.amdhsa_float_round_mode_16_64 0
		.amdhsa_float_denorm_mode_32 3
		.amdhsa_float_denorm_mode_16_64 3
		.amdhsa_dx10_clamp 1
		.amdhsa_ieee_mode 1
		.amdhsa_fp16_overflow 0
		.amdhsa_workgroup_processor_mode 1
		.amdhsa_memory_ordered 1
		.amdhsa_forward_progress 0
		.amdhsa_shared_vgpr_count 0
		.amdhsa_exception_fp_ieee_invalid_op 0
		.amdhsa_exception_fp_denorm_src 0
		.amdhsa_exception_fp_ieee_div_zero 0
		.amdhsa_exception_fp_ieee_overflow 0
		.amdhsa_exception_fp_ieee_underflow 0
		.amdhsa_exception_fp_ieee_inexact 0
		.amdhsa_exception_int_div_zero 0
	.end_amdhsa_kernel
	.section	.text._Z11rank_kernelILj64ELj1ELj4ELb0EL18RadixRankAlgorithm0EjEvPKT4_Pijj,"axG",@progbits,_Z11rank_kernelILj64ELj1ELj4ELb0EL18RadixRankAlgorithm0EjEvPKT4_Pijj,comdat
.Lfunc_end24:
	.size	_Z11rank_kernelILj64ELj1ELj4ELb0EL18RadixRankAlgorithm0EjEvPKT4_Pijj, .Lfunc_end24-_Z11rank_kernelILj64ELj1ELj4ELb0EL18RadixRankAlgorithm0EjEvPKT4_Pijj
                                        ; -- End function
	.section	.AMDGPU.csdata,"",@progbits
; Kernel info:
; codeLenInByte = 944
; NumSgprs: 18
; NumVgprs: 13
; ScratchSize: 0
; MemoryBound: 0
; FloatMode: 240
; IeeeMode: 1
; LDSByteSize: 2064 bytes/workgroup (compile time only)
; SGPRBlocks: 2
; VGPRBlocks: 1
; NumSGPRsForWavesPerEU: 18
; NumVGPRsForWavesPerEU: 13
; Occupancy: 16
; WaveLimiterHint : 0
; COMPUTE_PGM_RSRC2:SCRATCH_EN: 0
; COMPUTE_PGM_RSRC2:USER_SGPR: 15
; COMPUTE_PGM_RSRC2:TRAP_HANDLER: 0
; COMPUTE_PGM_RSRC2:TGID_X_EN: 1
; COMPUTE_PGM_RSRC2:TGID_Y_EN: 0
; COMPUTE_PGM_RSRC2:TGID_Z_EN: 0
; COMPUTE_PGM_RSRC2:TIDIG_COMP_CNT: 0
	.section	.text._Z11rank_kernelILj193ELj2ELj4ELb1EL18RadixRankAlgorithm1E12hip_bfloat16EvPKT4_Pijj,"axG",@progbits,_Z11rank_kernelILj193ELj2ELj4ELb1EL18RadixRankAlgorithm1E12hip_bfloat16EvPKT4_Pijj,comdat
	.protected	_Z11rank_kernelILj193ELj2ELj4ELb1EL18RadixRankAlgorithm1E12hip_bfloat16EvPKT4_Pijj ; -- Begin function _Z11rank_kernelILj193ELj2ELj4ELb1EL18RadixRankAlgorithm1E12hip_bfloat16EvPKT4_Pijj
	.globl	_Z11rank_kernelILj193ELj2ELj4ELb1EL18RadixRankAlgorithm1E12hip_bfloat16EvPKT4_Pijj
	.p2align	8
	.type	_Z11rank_kernelILj193ELj2ELj4ELb1EL18RadixRankAlgorithm1E12hip_bfloat16EvPKT4_Pijj,@function
_Z11rank_kernelILj193ELj2ELj4ELb1EL18RadixRankAlgorithm1E12hip_bfloat16EvPKT4_Pijj: ; @_Z11rank_kernelILj193ELj2ELj4ELb1EL18RadixRankAlgorithm1E12hip_bfloat16EvPKT4_Pijj
; %bb.0:
	s_load_b128 s[4:7], s[0:1], 0x0
	s_mul_i32 s2, s15, 0x182
	s_mov_b32 s3, 0
	v_dual_mov_b32 v3, 0 :: v_dual_lshlrev_b32 v2, 2, v0
	s_lshl_b64 s[8:9], s[2:3], 1
	v_lshlrev_b32_e32 v9, 1, v0
	v_add_nc_u32_e32 v4, 0xffffff3f, v0
	s_waitcnt lgkmcnt(0)
	s_add_u32 s4, s4, s8
	s_addc_u32 s5, s5, s9
	global_load_b32 v1, v2, s[4:5]
	s_mov_b32 s4, s3
.LBB25_1:                               ; =>This Inner Loop Header: Depth=1
	v_add_nc_u32_e32 v4, 0xc1, v4
	ds_store_b32 v2, v3
	v_add_nc_u32_e32 v2, 0x304, v2
	v_cmp_lt_u32_e32 vcc_lo, 0x546, v4
	s_or_b32 s4, vcc_lo, s4
	s_delay_alu instid0(SALU_CYCLE_1)
	s_and_not1_b32 exec_lo, exec_lo, s4
	s_cbranch_execnz .LBB25_1
; %bb.2:
	s_or_b32 exec_lo, exec_lo, s4
	s_load_b64 s[0:1], s[0:1], 0x10
	s_waitcnt vmcnt(0)
	v_cmp_lt_i16_e32 vcc_lo, -1, v1
	v_lshlrev_b32_e32 v14, 5, v0
	v_cndmask_b32_e64 v2, -1, 0xffff8000, vcc_lo
	s_delay_alu instid0(VALU_DEP_1) | instskip(SKIP_1) | instid1(VALU_DEP_2)
	v_xor_b32_e32 v2, v2, v1
	v_lshrrev_b32_e32 v1, 16, v1
	v_cmp_ne_u16_e32 vcc_lo, 0x7fff, v2
	s_waitcnt lgkmcnt(0)
	s_and_b32 s1, s1, 31
	v_cndmask_b32_e32 v2, 0xffff8000, v2, vcc_lo
	s_cmp_eq_u32 s1, 0
	v_cmp_lt_i16_e32 vcc_lo, -1, v1
	s_cselect_b32 s4, -1, 0
	s_and_b32 s0, s0, 31
	v_and_b32_e32 v2, 0xffff, v2
	s_add_i32 s0, s0, s1
	v_cndmask_b32_e64 v3, -1, 0xffff8000, vcc_lo
	s_sub_i32 s0, 32, s0
	s_sub_i32 s1, 32, s1
	v_lshlrev_b32_e32 v2, s0, v2
	s_delay_alu instid0(VALU_DEP_2) | instskip(NEXT) | instid1(VALU_DEP_2)
	v_xor_b32_e32 v1, v3, v1
	v_bfe_u32 v2, v2, s1, 16
	s_delay_alu instid0(VALU_DEP_2) | instskip(NEXT) | instid1(VALU_DEP_2)
	v_cmp_ne_u16_e32 vcc_lo, 0x7fff, v1
	v_xor_b32_e32 v2, 15, v2
	v_cndmask_b32_e32 v1, 0xffff8000, v1, vcc_lo
	s_delay_alu instid0(VALU_DEP_2) | instskip(NEXT) | instid1(VALU_DEP_2)
	v_cndmask_b32_e64 v2, v2, 15, s4
	v_and_b32_e32 v1, 0xffff, v1
	s_delay_alu instid0(VALU_DEP_2) | instskip(SKIP_1) | instid1(VALU_DEP_3)
	v_and_b32_e32 v3, 7, v2
	v_lshrrev_b32_e32 v2, 3, v2
	v_lshlrev_b32_e32 v1, s0, v1
	s_mov_b32 s0, exec_lo
	s_delay_alu instid0(VALU_DEP_3) | instskip(NEXT) | instid1(VALU_DEP_2)
	v_mul_u32_u24_e32 v3, 0xc1, v3
	v_bfe_u32 v1, v1, s1, 16
	s_delay_alu instid0(VALU_DEP_2) | instskip(NEXT) | instid1(VALU_DEP_2)
	v_add_lshl_u32 v3, v3, v0, 1
	v_xor_b32_e32 v1, 15, v1
	s_delay_alu instid0(VALU_DEP_2) | instskip(NEXT) | instid1(VALU_DEP_2)
	v_add_lshl_u32 v11, v3, v2, 1
	v_cndmask_b32_e64 v1, v1, 15, s4
	ds_load_u16 v10, v11
	v_and_b32_e32 v2, 7, v1
	v_lshrrev_b32_e32 v1, 3, v1
	s_delay_alu instid0(VALU_DEP_2) | instskip(NEXT) | instid1(VALU_DEP_1)
	v_mul_u32_u24_e32 v2, 0xc1, v2
	v_add_lshl_u32 v2, v2, v0, 1
	s_delay_alu instid0(VALU_DEP_1)
	v_add_lshl_u32 v12, v2, v1, 1
	s_waitcnt lgkmcnt(0)
	v_add_nc_u16 v3, v10, 1
	ds_store_b16 v11, v3
	ds_load_u16 v13, v12
	s_waitcnt lgkmcnt(0)
	v_add_nc_u16 v1, v13, 1
	ds_store_b16 v12, v1
	s_waitcnt lgkmcnt(0)
	s_barrier
	buffer_gl0_inv
	ds_load_2addr_b32 v[7:8], v14 offset1:1
	ds_load_2addr_b32 v[5:6], v14 offset0:2 offset1:3
	ds_load_2addr_b32 v[1:2], v14 offset0:4 offset1:5
	;; [unrolled: 1-line block ×3, first 2 shown]
	s_waitcnt lgkmcnt(3)
	v_add_nc_u32_e32 v15, v8, v7
	s_waitcnt lgkmcnt(2)
	s_delay_alu instid0(VALU_DEP_1) | instskip(SKIP_1) | instid1(VALU_DEP_1)
	v_add3_u32 v15, v15, v5, v6
	s_waitcnt lgkmcnt(1)
	v_add3_u32 v16, v15, v1, v2
	v_mbcnt_lo_u32_b32 v15, -1, 0
	s_waitcnt lgkmcnt(0)
	s_delay_alu instid0(VALU_DEP_2) | instskip(NEXT) | instid1(VALU_DEP_2)
	v_add3_u32 v4, v16, v3, v4
	v_and_b32_e32 v16, 15, v15
	v_bfe_i32 v18, v15, 4, 1
	s_delay_alu instid0(VALU_DEP_3) | instskip(NEXT) | instid1(VALU_DEP_3)
	v_mov_b32_dpp v17, v4 row_shr:1 row_mask:0xf bank_mask:0xf
	v_cmp_ne_u32_e32 vcc_lo, 0, v16
	s_delay_alu instid0(VALU_DEP_2) | instskip(SKIP_1) | instid1(VALU_DEP_2)
	v_cndmask_b32_e32 v17, 0, v17, vcc_lo
	v_cmp_lt_u32_e32 vcc_lo, 1, v16
	v_add_nc_u32_e32 v4, v17, v4
	s_delay_alu instid0(VALU_DEP_1) | instskip(NEXT) | instid1(VALU_DEP_1)
	v_mov_b32_dpp v17, v4 row_shr:2 row_mask:0xf bank_mask:0xf
	v_cndmask_b32_e32 v17, 0, v17, vcc_lo
	v_cmp_lt_u32_e32 vcc_lo, 3, v16
	s_delay_alu instid0(VALU_DEP_2) | instskip(NEXT) | instid1(VALU_DEP_1)
	v_add_nc_u32_e32 v4, v4, v17
	v_mov_b32_dpp v17, v4 row_shr:4 row_mask:0xf bank_mask:0xf
	s_delay_alu instid0(VALU_DEP_1) | instskip(SKIP_1) | instid1(VALU_DEP_2)
	v_cndmask_b32_e32 v17, 0, v17, vcc_lo
	v_cmp_lt_u32_e32 vcc_lo, 7, v16
	v_add_nc_u32_e32 v4, v4, v17
	s_delay_alu instid0(VALU_DEP_1) | instskip(NEXT) | instid1(VALU_DEP_1)
	v_mov_b32_dpp v17, v4 row_shr:8 row_mask:0xf bank_mask:0xf
	v_dual_cndmask_b32 v16, 0, v17 :: v_dual_and_b32 v17, 0xe0, v0
	s_delay_alu instid0(VALU_DEP_1) | instskip(NEXT) | instid1(VALU_DEP_2)
	v_add_nc_u32_e32 v4, v4, v16
	v_min_u32_e32 v17, 0xa1, v17
	ds_swizzle_b32 v16, v4 offset:swizzle(BROADCAST,32,15)
	v_add_nc_u32_e32 v17, 31, v17
	s_waitcnt lgkmcnt(0)
	v_and_b32_e32 v16, v18, v16
	v_lshrrev_b32_e32 v18, 5, v0
	s_delay_alu instid0(VALU_DEP_2) | instskip(NEXT) | instid1(VALU_DEP_2)
	v_add_nc_u32_e32 v4, v4, v16
	v_lshlrev_b32_e32 v16, 2, v18
	v_cmpx_eq_u32_e64 v17, v0
	s_cbranch_execz .LBB25_4
; %bb.3:
	ds_store_b32 v16, v4 offset:6176
.LBB25_4:
	s_or_b32 exec_lo, exec_lo, s0
	s_delay_alu instid0(SALU_CYCLE_1)
	s_mov_b32 s0, exec_lo
	s_waitcnt lgkmcnt(0)
	s_barrier
	buffer_gl0_inv
	v_cmpx_gt_u32_e32 7, v0
	s_cbranch_execz .LBB25_6
; %bb.5:
	v_lshlrev_b32_e32 v17, 2, v0
	ds_load_b32 v18, v17 offset:6176
	s_waitcnt lgkmcnt(0)
	v_mov_b32_dpp v20, v18 row_shr:1 row_mask:0xf bank_mask:0xf
	v_and_b32_e32 v19, 7, v15
	s_delay_alu instid0(VALU_DEP_1) | instskip(NEXT) | instid1(VALU_DEP_3)
	v_cmp_ne_u32_e32 vcc_lo, 0, v19
	v_cndmask_b32_e32 v20, 0, v20, vcc_lo
	v_cmp_lt_u32_e32 vcc_lo, 1, v19
	s_delay_alu instid0(VALU_DEP_2) | instskip(NEXT) | instid1(VALU_DEP_1)
	v_add_nc_u32_e32 v18, v20, v18
	v_mov_b32_dpp v20, v18 row_shr:2 row_mask:0xf bank_mask:0xf
	s_delay_alu instid0(VALU_DEP_1) | instskip(SKIP_1) | instid1(VALU_DEP_2)
	v_cndmask_b32_e32 v20, 0, v20, vcc_lo
	v_cmp_lt_u32_e32 vcc_lo, 3, v19
	v_add_nc_u32_e32 v18, v18, v20
	s_delay_alu instid0(VALU_DEP_1) | instskip(NEXT) | instid1(VALU_DEP_1)
	v_mov_b32_dpp v20, v18 row_shr:4 row_mask:0xf bank_mask:0xf
	v_cndmask_b32_e32 v19, 0, v20, vcc_lo
	s_delay_alu instid0(VALU_DEP_1)
	v_add_nc_u32_e32 v18, v18, v19
	ds_store_b32 v17, v18 offset:6176
.LBB25_6:
	s_or_b32 exec_lo, exec_lo, s0
	v_cmp_lt_u32_e32 vcc_lo, 31, v0
	v_dual_mov_b32 v0, 0 :: v_dual_mov_b32 v17, 0
	s_waitcnt lgkmcnt(0)
	s_barrier
	buffer_gl0_inv
	s_and_saveexec_b32 s0, vcc_lo
	s_cbranch_execz .LBB25_8
; %bb.7:
	ds_load_b32 v17, v16 offset:6172
.LBB25_8:
	s_or_b32 exec_lo, exec_lo, s0
	v_add_nc_u32_e32 v16, -1, v15
	s_waitcnt lgkmcnt(0)
	v_add_nc_u32_e32 v4, v17, v4
	ds_load_b32 v0, v0 offset:6200
	s_lshl_b64 s[0:1], s[2:3], 2
	s_delay_alu instid0(SALU_CYCLE_1) | instskip(SKIP_4) | instid1(VALU_DEP_2)
	s_add_u32 s0, s6, s0
	v_cmp_gt_i32_e32 vcc_lo, 0, v16
	s_addc_u32 s1, s7, s1
	v_cndmask_b32_e32 v16, v16, v15, vcc_lo
	v_cmp_eq_u32_e32 vcc_lo, 0, v15
	v_lshlrev_b32_e32 v16, 2, v16
	ds_bpermute_b32 v4, v16, v4
	s_waitcnt lgkmcnt(0)
	v_cndmask_b32_e32 v4, v4, v17, vcc_lo
	s_delay_alu instid0(VALU_DEP_1) | instskip(NEXT) | instid1(VALU_DEP_1)
	v_lshl_add_u32 v0, v0, 16, v4
	v_add_nc_u32_e32 v4, v0, v7
	s_delay_alu instid0(VALU_DEP_1) | instskip(NEXT) | instid1(VALU_DEP_1)
	v_add_nc_u32_e32 v7, v4, v8
	v_add_nc_u32_e32 v5, v7, v5
	s_delay_alu instid0(VALU_DEP_1) | instskip(NEXT) | instid1(VALU_DEP_1)
	v_add_nc_u32_e32 v6, v5, v6
	;; [unrolled: 3-line block ×3, first 2 shown]
	v_add_nc_u32_e32 v3, v2, v3
	ds_store_2addr_b32 v14, v0, v4 offset1:1
	ds_store_2addr_b32 v14, v7, v5 offset0:2 offset1:3
	ds_store_2addr_b32 v14, v6, v1 offset0:4 offset1:5
	;; [unrolled: 1-line block ×3, first 2 shown]
	s_waitcnt lgkmcnt(0)
	s_barrier
	buffer_gl0_inv
	ds_load_u16 v0, v11
	ds_load_u16 v1, v12
	v_and_b32_e32 v2, 0xffff, v10
	v_and_b32_e32 v3, 0xffff, v13
	s_waitcnt lgkmcnt(1)
	s_delay_alu instid0(VALU_DEP_2) | instskip(SKIP_1) | instid1(VALU_DEP_2)
	v_add_nc_u32_e32 v0, v0, v2
	s_waitcnt lgkmcnt(0)
	v_add_nc_u32_e32 v1, v1, v3
	v_lshlrev_b32_e32 v2, 2, v9
	global_store_b64 v2, v[0:1], s[0:1]
	s_nop 0
	s_sendmsg sendmsg(MSG_DEALLOC_VGPRS)
	s_endpgm
	.section	.rodata,"a",@progbits
	.p2align	6, 0x0
	.amdhsa_kernel _Z11rank_kernelILj193ELj2ELj4ELb1EL18RadixRankAlgorithm1E12hip_bfloat16EvPKT4_Pijj
		.amdhsa_group_segment_fixed_size 6208
		.amdhsa_private_segment_fixed_size 0
		.amdhsa_kernarg_size 24
		.amdhsa_user_sgpr_count 15
		.amdhsa_user_sgpr_dispatch_ptr 0
		.amdhsa_user_sgpr_queue_ptr 0
		.amdhsa_user_sgpr_kernarg_segment_ptr 1
		.amdhsa_user_sgpr_dispatch_id 0
		.amdhsa_user_sgpr_private_segment_size 0
		.amdhsa_wavefront_size32 1
		.amdhsa_uses_dynamic_stack 0
		.amdhsa_enable_private_segment 0
		.amdhsa_system_sgpr_workgroup_id_x 1
		.amdhsa_system_sgpr_workgroup_id_y 0
		.amdhsa_system_sgpr_workgroup_id_z 0
		.amdhsa_system_sgpr_workgroup_info 0
		.amdhsa_system_vgpr_workitem_id 0
		.amdhsa_next_free_vgpr 21
		.amdhsa_next_free_sgpr 16
		.amdhsa_reserve_vcc 1
		.amdhsa_float_round_mode_32 0
		.amdhsa_float_round_mode_16_64 0
		.amdhsa_float_denorm_mode_32 3
		.amdhsa_float_denorm_mode_16_64 3
		.amdhsa_dx10_clamp 1
		.amdhsa_ieee_mode 1
		.amdhsa_fp16_overflow 0
		.amdhsa_workgroup_processor_mode 1
		.amdhsa_memory_ordered 1
		.amdhsa_forward_progress 0
		.amdhsa_shared_vgpr_count 0
		.amdhsa_exception_fp_ieee_invalid_op 0
		.amdhsa_exception_fp_denorm_src 0
		.amdhsa_exception_fp_ieee_div_zero 0
		.amdhsa_exception_fp_ieee_overflow 0
		.amdhsa_exception_fp_ieee_underflow 0
		.amdhsa_exception_fp_ieee_inexact 0
		.amdhsa_exception_int_div_zero 0
	.end_amdhsa_kernel
	.section	.text._Z11rank_kernelILj193ELj2ELj4ELb1EL18RadixRankAlgorithm1E12hip_bfloat16EvPKT4_Pijj,"axG",@progbits,_Z11rank_kernelILj193ELj2ELj4ELb1EL18RadixRankAlgorithm1E12hip_bfloat16EvPKT4_Pijj,comdat
.Lfunc_end25:
	.size	_Z11rank_kernelILj193ELj2ELj4ELb1EL18RadixRankAlgorithm1E12hip_bfloat16EvPKT4_Pijj, .Lfunc_end25-_Z11rank_kernelILj193ELj2ELj4ELb1EL18RadixRankAlgorithm1E12hip_bfloat16EvPKT4_Pijj
                                        ; -- End function
	.section	.AMDGPU.csdata,"",@progbits
; Kernel info:
; codeLenInByte = 1212
; NumSgprs: 18
; NumVgprs: 21
; ScratchSize: 0
; MemoryBound: 0
; FloatMode: 240
; IeeeMode: 1
; LDSByteSize: 6208 bytes/workgroup (compile time only)
; SGPRBlocks: 2
; VGPRBlocks: 2
; NumSGPRsForWavesPerEU: 18
; NumVGPRsForWavesPerEU: 21
; Occupancy: 16
; WaveLimiterHint : 0
; COMPUTE_PGM_RSRC2:SCRATCH_EN: 0
; COMPUTE_PGM_RSRC2:USER_SGPR: 15
; COMPUTE_PGM_RSRC2:TRAP_HANDLER: 0
; COMPUTE_PGM_RSRC2:TGID_X_EN: 1
; COMPUTE_PGM_RSRC2:TGID_Y_EN: 0
; COMPUTE_PGM_RSRC2:TGID_Z_EN: 0
; COMPUTE_PGM_RSRC2:TIDIG_COMP_CNT: 0
	.section	.text._Z11rank_kernelILj193ELj2ELj4ELb1EL18RadixRankAlgorithm1E6__halfEvPKT4_Pijj,"axG",@progbits,_Z11rank_kernelILj193ELj2ELj4ELb1EL18RadixRankAlgorithm1E6__halfEvPKT4_Pijj,comdat
	.protected	_Z11rank_kernelILj193ELj2ELj4ELb1EL18RadixRankAlgorithm1E6__halfEvPKT4_Pijj ; -- Begin function _Z11rank_kernelILj193ELj2ELj4ELb1EL18RadixRankAlgorithm1E6__halfEvPKT4_Pijj
	.globl	_Z11rank_kernelILj193ELj2ELj4ELb1EL18RadixRankAlgorithm1E6__halfEvPKT4_Pijj
	.p2align	8
	.type	_Z11rank_kernelILj193ELj2ELj4ELb1EL18RadixRankAlgorithm1E6__halfEvPKT4_Pijj,@function
_Z11rank_kernelILj193ELj2ELj4ELb1EL18RadixRankAlgorithm1E6__halfEvPKT4_Pijj: ; @_Z11rank_kernelILj193ELj2ELj4ELb1EL18RadixRankAlgorithm1E6__halfEvPKT4_Pijj
; %bb.0:
	s_load_b128 s[4:7], s[0:1], 0x0
	s_mul_i32 s2, s15, 0x182
	s_mov_b32 s3, 0
	v_dual_mov_b32 v3, 0 :: v_dual_lshlrev_b32 v2, 2, v0
	s_lshl_b64 s[8:9], s[2:3], 1
	v_lshlrev_b32_e32 v9, 1, v0
	v_add_nc_u32_e32 v4, 0xffffff3f, v0
	s_waitcnt lgkmcnt(0)
	s_add_u32 s4, s4, s8
	s_addc_u32 s5, s5, s9
	global_load_b32 v1, v2, s[4:5]
	s_mov_b32 s4, s3
.LBB26_1:                               ; =>This Inner Loop Header: Depth=1
	v_add_nc_u32_e32 v4, 0xc1, v4
	ds_store_b32 v2, v3
	v_add_nc_u32_e32 v2, 0x304, v2
	v_cmp_lt_u32_e32 vcc_lo, 0x546, v4
	s_or_b32 s4, vcc_lo, s4
	s_delay_alu instid0(SALU_CYCLE_1)
	s_and_not1_b32 exec_lo, exec_lo, s4
	s_cbranch_execnz .LBB26_1
; %bb.2:
	s_or_b32 exec_lo, exec_lo, s4
	s_load_b64 s[0:1], s[0:1], 0x10
	s_waitcnt vmcnt(0)
	v_cmp_lt_i16_e32 vcc_lo, -1, v1
	v_lshlrev_b32_e32 v14, 5, v0
	v_cndmask_b32_e64 v2, -1, 0xffff8000, vcc_lo
	s_delay_alu instid0(VALU_DEP_1) | instskip(SKIP_1) | instid1(VALU_DEP_2)
	v_xor_b32_e32 v2, v2, v1
	v_lshrrev_b32_e32 v1, 16, v1
	v_cmp_ne_u16_e32 vcc_lo, 0x7fff, v2
	s_waitcnt lgkmcnt(0)
	s_and_b32 s1, s1, 31
	v_cndmask_b32_e32 v2, 0xffff8000, v2, vcc_lo
	s_cmp_eq_u32 s1, 0
	v_cmp_lt_i16_e32 vcc_lo, -1, v1
	s_cselect_b32 s4, -1, 0
	s_and_b32 s0, s0, 31
	v_and_b32_e32 v2, 0xffff, v2
	s_add_i32 s0, s0, s1
	v_cndmask_b32_e64 v3, -1, 0xffff8000, vcc_lo
	s_sub_i32 s0, 32, s0
	s_sub_i32 s1, 32, s1
	v_lshlrev_b32_e32 v2, s0, v2
	s_delay_alu instid0(VALU_DEP_2) | instskip(NEXT) | instid1(VALU_DEP_2)
	v_xor_b32_e32 v1, v3, v1
	v_bfe_u32 v2, v2, s1, 16
	s_delay_alu instid0(VALU_DEP_2) | instskip(NEXT) | instid1(VALU_DEP_2)
	v_cmp_ne_u16_e32 vcc_lo, 0x7fff, v1
	v_xor_b32_e32 v2, 15, v2
	v_cndmask_b32_e32 v1, 0xffff8000, v1, vcc_lo
	s_delay_alu instid0(VALU_DEP_2) | instskip(NEXT) | instid1(VALU_DEP_2)
	v_cndmask_b32_e64 v2, v2, 15, s4
	v_and_b32_e32 v1, 0xffff, v1
	s_delay_alu instid0(VALU_DEP_2) | instskip(SKIP_1) | instid1(VALU_DEP_3)
	v_and_b32_e32 v3, 7, v2
	v_lshrrev_b32_e32 v2, 3, v2
	v_lshlrev_b32_e32 v1, s0, v1
	s_mov_b32 s0, exec_lo
	s_delay_alu instid0(VALU_DEP_3) | instskip(NEXT) | instid1(VALU_DEP_2)
	v_mul_u32_u24_e32 v3, 0xc1, v3
	v_bfe_u32 v1, v1, s1, 16
	s_delay_alu instid0(VALU_DEP_2) | instskip(NEXT) | instid1(VALU_DEP_2)
	v_add_lshl_u32 v3, v3, v0, 1
	v_xor_b32_e32 v1, 15, v1
	s_delay_alu instid0(VALU_DEP_2) | instskip(NEXT) | instid1(VALU_DEP_2)
	v_add_lshl_u32 v11, v3, v2, 1
	v_cndmask_b32_e64 v1, v1, 15, s4
	ds_load_u16 v10, v11
	v_and_b32_e32 v2, 7, v1
	v_lshrrev_b32_e32 v1, 3, v1
	s_delay_alu instid0(VALU_DEP_2) | instskip(NEXT) | instid1(VALU_DEP_1)
	v_mul_u32_u24_e32 v2, 0xc1, v2
	v_add_lshl_u32 v2, v2, v0, 1
	s_delay_alu instid0(VALU_DEP_1)
	v_add_lshl_u32 v12, v2, v1, 1
	s_waitcnt lgkmcnt(0)
	v_add_nc_u16 v3, v10, 1
	ds_store_b16 v11, v3
	ds_load_u16 v13, v12
	s_waitcnt lgkmcnt(0)
	v_add_nc_u16 v1, v13, 1
	ds_store_b16 v12, v1
	s_waitcnt lgkmcnt(0)
	s_barrier
	buffer_gl0_inv
	ds_load_2addr_b32 v[7:8], v14 offset1:1
	ds_load_2addr_b32 v[5:6], v14 offset0:2 offset1:3
	ds_load_2addr_b32 v[1:2], v14 offset0:4 offset1:5
	;; [unrolled: 1-line block ×3, first 2 shown]
	s_waitcnt lgkmcnt(3)
	v_add_nc_u32_e32 v15, v8, v7
	s_waitcnt lgkmcnt(2)
	s_delay_alu instid0(VALU_DEP_1) | instskip(SKIP_1) | instid1(VALU_DEP_1)
	v_add3_u32 v15, v15, v5, v6
	s_waitcnt lgkmcnt(1)
	v_add3_u32 v16, v15, v1, v2
	v_mbcnt_lo_u32_b32 v15, -1, 0
	s_waitcnt lgkmcnt(0)
	s_delay_alu instid0(VALU_DEP_2) | instskip(NEXT) | instid1(VALU_DEP_2)
	v_add3_u32 v4, v16, v3, v4
	v_and_b32_e32 v16, 15, v15
	v_bfe_i32 v18, v15, 4, 1
	s_delay_alu instid0(VALU_DEP_3) | instskip(NEXT) | instid1(VALU_DEP_3)
	v_mov_b32_dpp v17, v4 row_shr:1 row_mask:0xf bank_mask:0xf
	v_cmp_ne_u32_e32 vcc_lo, 0, v16
	s_delay_alu instid0(VALU_DEP_2) | instskip(SKIP_1) | instid1(VALU_DEP_2)
	v_cndmask_b32_e32 v17, 0, v17, vcc_lo
	v_cmp_lt_u32_e32 vcc_lo, 1, v16
	v_add_nc_u32_e32 v4, v17, v4
	s_delay_alu instid0(VALU_DEP_1) | instskip(NEXT) | instid1(VALU_DEP_1)
	v_mov_b32_dpp v17, v4 row_shr:2 row_mask:0xf bank_mask:0xf
	v_cndmask_b32_e32 v17, 0, v17, vcc_lo
	v_cmp_lt_u32_e32 vcc_lo, 3, v16
	s_delay_alu instid0(VALU_DEP_2) | instskip(NEXT) | instid1(VALU_DEP_1)
	v_add_nc_u32_e32 v4, v4, v17
	v_mov_b32_dpp v17, v4 row_shr:4 row_mask:0xf bank_mask:0xf
	s_delay_alu instid0(VALU_DEP_1) | instskip(SKIP_1) | instid1(VALU_DEP_2)
	v_cndmask_b32_e32 v17, 0, v17, vcc_lo
	v_cmp_lt_u32_e32 vcc_lo, 7, v16
	v_add_nc_u32_e32 v4, v4, v17
	s_delay_alu instid0(VALU_DEP_1) | instskip(NEXT) | instid1(VALU_DEP_1)
	v_mov_b32_dpp v17, v4 row_shr:8 row_mask:0xf bank_mask:0xf
	v_dual_cndmask_b32 v16, 0, v17 :: v_dual_and_b32 v17, 0xe0, v0
	s_delay_alu instid0(VALU_DEP_1) | instskip(NEXT) | instid1(VALU_DEP_2)
	v_add_nc_u32_e32 v4, v4, v16
	v_min_u32_e32 v17, 0xa1, v17
	ds_swizzle_b32 v16, v4 offset:swizzle(BROADCAST,32,15)
	v_add_nc_u32_e32 v17, 31, v17
	s_waitcnt lgkmcnt(0)
	v_and_b32_e32 v16, v18, v16
	v_lshrrev_b32_e32 v18, 5, v0
	s_delay_alu instid0(VALU_DEP_2) | instskip(NEXT) | instid1(VALU_DEP_2)
	v_add_nc_u32_e32 v4, v4, v16
	v_lshlrev_b32_e32 v16, 2, v18
	v_cmpx_eq_u32_e64 v17, v0
	s_cbranch_execz .LBB26_4
; %bb.3:
	ds_store_b32 v16, v4 offset:6176
.LBB26_4:
	s_or_b32 exec_lo, exec_lo, s0
	s_delay_alu instid0(SALU_CYCLE_1)
	s_mov_b32 s0, exec_lo
	s_waitcnt lgkmcnt(0)
	s_barrier
	buffer_gl0_inv
	v_cmpx_gt_u32_e32 7, v0
	s_cbranch_execz .LBB26_6
; %bb.5:
	v_lshlrev_b32_e32 v17, 2, v0
	ds_load_b32 v18, v17 offset:6176
	s_waitcnt lgkmcnt(0)
	v_mov_b32_dpp v20, v18 row_shr:1 row_mask:0xf bank_mask:0xf
	v_and_b32_e32 v19, 7, v15
	s_delay_alu instid0(VALU_DEP_1) | instskip(NEXT) | instid1(VALU_DEP_3)
	v_cmp_ne_u32_e32 vcc_lo, 0, v19
	v_cndmask_b32_e32 v20, 0, v20, vcc_lo
	v_cmp_lt_u32_e32 vcc_lo, 1, v19
	s_delay_alu instid0(VALU_DEP_2) | instskip(NEXT) | instid1(VALU_DEP_1)
	v_add_nc_u32_e32 v18, v20, v18
	v_mov_b32_dpp v20, v18 row_shr:2 row_mask:0xf bank_mask:0xf
	s_delay_alu instid0(VALU_DEP_1) | instskip(SKIP_1) | instid1(VALU_DEP_2)
	v_cndmask_b32_e32 v20, 0, v20, vcc_lo
	v_cmp_lt_u32_e32 vcc_lo, 3, v19
	v_add_nc_u32_e32 v18, v18, v20
	s_delay_alu instid0(VALU_DEP_1) | instskip(NEXT) | instid1(VALU_DEP_1)
	v_mov_b32_dpp v20, v18 row_shr:4 row_mask:0xf bank_mask:0xf
	v_cndmask_b32_e32 v19, 0, v20, vcc_lo
	s_delay_alu instid0(VALU_DEP_1)
	v_add_nc_u32_e32 v18, v18, v19
	ds_store_b32 v17, v18 offset:6176
.LBB26_6:
	s_or_b32 exec_lo, exec_lo, s0
	v_cmp_lt_u32_e32 vcc_lo, 31, v0
	v_dual_mov_b32 v0, 0 :: v_dual_mov_b32 v17, 0
	s_waitcnt lgkmcnt(0)
	s_barrier
	buffer_gl0_inv
	s_and_saveexec_b32 s0, vcc_lo
	s_cbranch_execz .LBB26_8
; %bb.7:
	ds_load_b32 v17, v16 offset:6172
.LBB26_8:
	s_or_b32 exec_lo, exec_lo, s0
	v_add_nc_u32_e32 v16, -1, v15
	s_waitcnt lgkmcnt(0)
	v_add_nc_u32_e32 v4, v17, v4
	ds_load_b32 v0, v0 offset:6200
	s_lshl_b64 s[0:1], s[2:3], 2
	s_delay_alu instid0(SALU_CYCLE_1) | instskip(SKIP_4) | instid1(VALU_DEP_2)
	s_add_u32 s0, s6, s0
	v_cmp_gt_i32_e32 vcc_lo, 0, v16
	s_addc_u32 s1, s7, s1
	v_cndmask_b32_e32 v16, v16, v15, vcc_lo
	v_cmp_eq_u32_e32 vcc_lo, 0, v15
	v_lshlrev_b32_e32 v16, 2, v16
	ds_bpermute_b32 v4, v16, v4
	s_waitcnt lgkmcnt(0)
	v_cndmask_b32_e32 v4, v4, v17, vcc_lo
	s_delay_alu instid0(VALU_DEP_1) | instskip(NEXT) | instid1(VALU_DEP_1)
	v_lshl_add_u32 v0, v0, 16, v4
	v_add_nc_u32_e32 v4, v0, v7
	s_delay_alu instid0(VALU_DEP_1) | instskip(NEXT) | instid1(VALU_DEP_1)
	v_add_nc_u32_e32 v7, v4, v8
	v_add_nc_u32_e32 v5, v7, v5
	s_delay_alu instid0(VALU_DEP_1) | instskip(NEXT) | instid1(VALU_DEP_1)
	v_add_nc_u32_e32 v6, v5, v6
	;; [unrolled: 3-line block ×3, first 2 shown]
	v_add_nc_u32_e32 v3, v2, v3
	ds_store_2addr_b32 v14, v0, v4 offset1:1
	ds_store_2addr_b32 v14, v7, v5 offset0:2 offset1:3
	ds_store_2addr_b32 v14, v6, v1 offset0:4 offset1:5
	;; [unrolled: 1-line block ×3, first 2 shown]
	s_waitcnt lgkmcnt(0)
	s_barrier
	buffer_gl0_inv
	ds_load_u16 v0, v11
	ds_load_u16 v1, v12
	v_and_b32_e32 v2, 0xffff, v10
	v_and_b32_e32 v3, 0xffff, v13
	s_waitcnt lgkmcnt(1)
	s_delay_alu instid0(VALU_DEP_2) | instskip(SKIP_1) | instid1(VALU_DEP_2)
	v_add_nc_u32_e32 v0, v0, v2
	s_waitcnt lgkmcnt(0)
	v_add_nc_u32_e32 v1, v1, v3
	v_lshlrev_b32_e32 v2, 2, v9
	global_store_b64 v2, v[0:1], s[0:1]
	s_nop 0
	s_sendmsg sendmsg(MSG_DEALLOC_VGPRS)
	s_endpgm
	.section	.rodata,"a",@progbits
	.p2align	6, 0x0
	.amdhsa_kernel _Z11rank_kernelILj193ELj2ELj4ELb1EL18RadixRankAlgorithm1E6__halfEvPKT4_Pijj
		.amdhsa_group_segment_fixed_size 6208
		.amdhsa_private_segment_fixed_size 0
		.amdhsa_kernarg_size 24
		.amdhsa_user_sgpr_count 15
		.amdhsa_user_sgpr_dispatch_ptr 0
		.amdhsa_user_sgpr_queue_ptr 0
		.amdhsa_user_sgpr_kernarg_segment_ptr 1
		.amdhsa_user_sgpr_dispatch_id 0
		.amdhsa_user_sgpr_private_segment_size 0
		.amdhsa_wavefront_size32 1
		.amdhsa_uses_dynamic_stack 0
		.amdhsa_enable_private_segment 0
		.amdhsa_system_sgpr_workgroup_id_x 1
		.amdhsa_system_sgpr_workgroup_id_y 0
		.amdhsa_system_sgpr_workgroup_id_z 0
		.amdhsa_system_sgpr_workgroup_info 0
		.amdhsa_system_vgpr_workitem_id 0
		.amdhsa_next_free_vgpr 21
		.amdhsa_next_free_sgpr 16
		.amdhsa_reserve_vcc 1
		.amdhsa_float_round_mode_32 0
		.amdhsa_float_round_mode_16_64 0
		.amdhsa_float_denorm_mode_32 3
		.amdhsa_float_denorm_mode_16_64 3
		.amdhsa_dx10_clamp 1
		.amdhsa_ieee_mode 1
		.amdhsa_fp16_overflow 0
		.amdhsa_workgroup_processor_mode 1
		.amdhsa_memory_ordered 1
		.amdhsa_forward_progress 0
		.amdhsa_shared_vgpr_count 0
		.amdhsa_exception_fp_ieee_invalid_op 0
		.amdhsa_exception_fp_denorm_src 0
		.amdhsa_exception_fp_ieee_div_zero 0
		.amdhsa_exception_fp_ieee_overflow 0
		.amdhsa_exception_fp_ieee_underflow 0
		.amdhsa_exception_fp_ieee_inexact 0
		.amdhsa_exception_int_div_zero 0
	.end_amdhsa_kernel
	.section	.text._Z11rank_kernelILj193ELj2ELj4ELb1EL18RadixRankAlgorithm1E6__halfEvPKT4_Pijj,"axG",@progbits,_Z11rank_kernelILj193ELj2ELj4ELb1EL18RadixRankAlgorithm1E6__halfEvPKT4_Pijj,comdat
.Lfunc_end26:
	.size	_Z11rank_kernelILj193ELj2ELj4ELb1EL18RadixRankAlgorithm1E6__halfEvPKT4_Pijj, .Lfunc_end26-_Z11rank_kernelILj193ELj2ELj4ELb1EL18RadixRankAlgorithm1E6__halfEvPKT4_Pijj
                                        ; -- End function
	.section	.AMDGPU.csdata,"",@progbits
; Kernel info:
; codeLenInByte = 1212
; NumSgprs: 18
; NumVgprs: 21
; ScratchSize: 0
; MemoryBound: 0
; FloatMode: 240
; IeeeMode: 1
; LDSByteSize: 6208 bytes/workgroup (compile time only)
; SGPRBlocks: 2
; VGPRBlocks: 2
; NumSGPRsForWavesPerEU: 18
; NumVGPRsForWavesPerEU: 21
; Occupancy: 16
; WaveLimiterHint : 0
; COMPUTE_PGM_RSRC2:SCRATCH_EN: 0
; COMPUTE_PGM_RSRC2:USER_SGPR: 15
; COMPUTE_PGM_RSRC2:TRAP_HANDLER: 0
; COMPUTE_PGM_RSRC2:TGID_X_EN: 1
; COMPUTE_PGM_RSRC2:TGID_Y_EN: 0
; COMPUTE_PGM_RSRC2:TGID_Z_EN: 0
; COMPUTE_PGM_RSRC2:TIDIG_COMP_CNT: 0
	.section	.text._Z11rank_kernelILj162ELj2ELj6ELb1EL18RadixRankAlgorithm1EjEvPKT4_Pijj,"axG",@progbits,_Z11rank_kernelILj162ELj2ELj6ELb1EL18RadixRankAlgorithm1EjEvPKT4_Pijj,comdat
	.protected	_Z11rank_kernelILj162ELj2ELj6ELb1EL18RadixRankAlgorithm1EjEvPKT4_Pijj ; -- Begin function _Z11rank_kernelILj162ELj2ELj6ELb1EL18RadixRankAlgorithm1EjEvPKT4_Pijj
	.globl	_Z11rank_kernelILj162ELj2ELj6ELb1EL18RadixRankAlgorithm1EjEvPKT4_Pijj
	.p2align	8
	.type	_Z11rank_kernelILj162ELj2ELj6ELb1EL18RadixRankAlgorithm1EjEvPKT4_Pijj,@function
_Z11rank_kernelILj162ELj2ELj6ELb1EL18RadixRankAlgorithm1EjEvPKT4_Pijj: ; @_Z11rank_kernelILj162ELj2ELj6ELb1EL18RadixRankAlgorithm1EjEvPKT4_Pijj
; %bb.0:
	s_load_b128 s[4:7], s[0:1], 0x0
	s_mul_i32 s8, s15, 0x144
	s_mov_b32 s9, 0
	v_lshlrev_b32_e32 v1, 3, v0
	s_lshl_b64 s[2:3], s[8:9], 2
	v_lshlrev_b32_e32 v33, 1, v0
	v_dual_mov_b32 v3, 0 :: v_dual_lshlrev_b32 v4, 2, v0
	v_add_nc_u32_e32 v5, 0xffffff5e, v0
	s_waitcnt lgkmcnt(0)
	s_add_u32 s4, s4, s2
	s_addc_u32 s5, s5, s3
	global_load_b64 v[1:2], v1, s[4:5]
.LBB27_1:                               ; =>This Inner Loop Header: Depth=1
	v_add_nc_u32_e32 v5, 0xa2, v5
	ds_store_b32 v4, v3
	v_add_nc_u32_e32 v4, 0x288, v4
	v_cmp_lt_u32_e32 vcc_lo, 0x139d, v5
	s_or_b32 s9, vcc_lo, s9
	s_delay_alu instid0(SALU_CYCLE_1)
	s_and_not1_b32 exec_lo, exec_lo, s9
	s_cbranch_execnz .LBB27_1
; %bb.2:
	s_or_b32 exec_lo, exec_lo, s9
	s_load_b64 s[0:1], s[0:1], 0x10
	v_lshlrev_b32_e32 v38, 7, v0
	s_waitcnt lgkmcnt(0)
	s_and_b32 s1, s1, 31
	s_delay_alu instid0(SALU_CYCLE_1) | instskip(SKIP_2) | instid1(SALU_CYCLE_1)
	s_cmp_eq_u32 s1, 0
	s_cselect_b32 s4, -1, 0
	s_and_b32 s0, s0, 31
	s_add_i32 s0, s0, s1
	s_sub_i32 s1, 32, s1
	s_sub_i32 s0, 32, s0
	s_waitcnt vmcnt(0)
	v_lshlrev_b32_e32 v1, s0, v1
	v_lshlrev_b32_e32 v2, s0, v2
	s_mov_b32 s0, exec_lo
	s_delay_alu instid0(VALU_DEP_2) | instskip(NEXT) | instid1(VALU_DEP_2)
	v_lshrrev_b32_e32 v1, s1, v1
	v_lshrrev_b32_e32 v2, s1, v2
	s_delay_alu instid0(VALU_DEP_2) | instskip(NEXT) | instid1(VALU_DEP_1)
	v_xor_b32_e32 v1, 63, v1
	v_cndmask_b32_e64 v1, v1, 63, s4
	s_delay_alu instid0(VALU_DEP_1) | instskip(SKIP_1) | instid1(VALU_DEP_2)
	v_and_b32_e32 v3, 31, v1
	v_lshrrev_b32_e32 v1, 5, v1
	v_mul_u32_u24_e32 v3, 0xa2, v3
	s_delay_alu instid0(VALU_DEP_1) | instskip(NEXT) | instid1(VALU_DEP_1)
	v_add_lshl_u32 v3, v3, v0, 1
	v_add_lshl_u32 v35, v3, v1, 1
	v_xor_b32_e32 v1, 63, v2
	ds_load_u16 v34, v35
	v_cndmask_b32_e64 v1, v1, 63, s4
	s_delay_alu instid0(VALU_DEP_1) | instskip(SKIP_1) | instid1(VALU_DEP_2)
	v_and_b32_e32 v2, 31, v1
	v_lshrrev_b32_e32 v1, 5, v1
	v_mul_u32_u24_e32 v2, 0xa2, v2
	s_delay_alu instid0(VALU_DEP_1) | instskip(SKIP_2) | instid1(VALU_DEP_2)
	v_add_lshl_u32 v2, v2, v0, 1
	s_waitcnt lgkmcnt(0)
	v_add_nc_u16 v3, v34, 1
	v_add_lshl_u32 v36, v2, v1, 1
	ds_store_b16 v35, v3
	ds_load_u16 v37, v36
	s_waitcnt lgkmcnt(0)
	v_add_nc_u16 v1, v37, 1
	ds_store_b16 v36, v1
	s_waitcnt lgkmcnt(0)
	s_barrier
	buffer_gl0_inv
	ds_load_2addr_b32 v[9:10], v38 offset1:1
	ds_load_2addr_b32 v[5:6], v38 offset0:2 offset1:3
	ds_load_2addr_b32 v[3:4], v38 offset0:4 offset1:5
	;; [unrolled: 1-line block ×13, first 2 shown]
	s_waitcnt lgkmcnt(13)
	v_add_nc_u32_e32 v7, v10, v9
	s_waitcnt lgkmcnt(12)
	s_delay_alu instid0(VALU_DEP_1) | instskip(SKIP_1) | instid1(VALU_DEP_1)
	v_add3_u32 v7, v7, v5, v6
	s_waitcnt lgkmcnt(11)
	v_add3_u32 v7, v7, v3, v4
	s_waitcnt lgkmcnt(10)
	s_delay_alu instid0(VALU_DEP_1) | instskip(SKIP_1) | instid1(VALU_DEP_1)
	v_add3_u32 v7, v7, v1, v2
	s_waitcnt lgkmcnt(9)
	v_add3_u32 v7, v7, v13, v14
	;; [unrolled: 5-line block ×5, first 2 shown]
	ds_load_2addr_b32 v[11:12], v38 offset0:28 offset1:29
	ds_load_2addr_b32 v[7:8], v38 offset0:30 offset1:31
	s_waitcnt lgkmcnt(4)
	v_add3_u32 v39, v39, v27, v28
	s_waitcnt lgkmcnt(3)
	s_delay_alu instid0(VALU_DEP_1) | instskip(SKIP_1) | instid1(VALU_DEP_1)
	v_add3_u32 v39, v39, v29, v30
	s_waitcnt lgkmcnt(2)
	v_add3_u32 v39, v39, v31, v32
	s_waitcnt lgkmcnt(1)
	s_delay_alu instid0(VALU_DEP_1) | instskip(SKIP_2) | instid1(VALU_DEP_2)
	v_add3_u32 v40, v39, v11, v12
	v_mbcnt_lo_u32_b32 v39, -1, 0
	s_waitcnt lgkmcnt(0)
	v_add3_u32 v8, v40, v7, v8
	s_delay_alu instid0(VALU_DEP_2) | instskip(SKIP_1) | instid1(VALU_DEP_3)
	v_and_b32_e32 v40, 15, v39
	v_bfe_i32 v42, v39, 4, 1
	v_mov_b32_dpp v41, v8 row_shr:1 row_mask:0xf bank_mask:0xf
	s_delay_alu instid0(VALU_DEP_3) | instskip(NEXT) | instid1(VALU_DEP_2)
	v_cmp_ne_u32_e32 vcc_lo, 0, v40
	v_cndmask_b32_e32 v41, 0, v41, vcc_lo
	v_cmp_lt_u32_e32 vcc_lo, 1, v40
	s_delay_alu instid0(VALU_DEP_2) | instskip(NEXT) | instid1(VALU_DEP_1)
	v_add_nc_u32_e32 v8, v41, v8
	v_mov_b32_dpp v41, v8 row_shr:2 row_mask:0xf bank_mask:0xf
	s_delay_alu instid0(VALU_DEP_1) | instskip(SKIP_1) | instid1(VALU_DEP_2)
	v_cndmask_b32_e32 v41, 0, v41, vcc_lo
	v_cmp_lt_u32_e32 vcc_lo, 3, v40
	v_add_nc_u32_e32 v8, v8, v41
	s_delay_alu instid0(VALU_DEP_1) | instskip(NEXT) | instid1(VALU_DEP_1)
	v_mov_b32_dpp v41, v8 row_shr:4 row_mask:0xf bank_mask:0xf
	v_cndmask_b32_e32 v41, 0, v41, vcc_lo
	v_cmp_lt_u32_e32 vcc_lo, 7, v40
	s_delay_alu instid0(VALU_DEP_2) | instskip(NEXT) | instid1(VALU_DEP_1)
	v_add_nc_u32_e32 v8, v8, v41
	v_mov_b32_dpp v41, v8 row_shr:8 row_mask:0xf bank_mask:0xf
	s_delay_alu instid0(VALU_DEP_1) | instskip(NEXT) | instid1(VALU_DEP_1)
	v_dual_cndmask_b32 v40, 0, v41 :: v_dual_and_b32 v41, 0xe0, v0
	v_add_nc_u32_e32 v8, v8, v40
	s_delay_alu instid0(VALU_DEP_2)
	v_min_u32_e32 v41, 0x82, v41
	ds_swizzle_b32 v40, v8 offset:swizzle(BROADCAST,32,15)
	v_add_nc_u32_e32 v41, 31, v41
	s_waitcnt lgkmcnt(0)
	v_and_b32_e32 v40, v42, v40
	v_lshrrev_b32_e32 v42, 5, v0
	s_delay_alu instid0(VALU_DEP_2) | instskip(NEXT) | instid1(VALU_DEP_2)
	v_add_nc_u32_e32 v8, v8, v40
	v_lshlrev_b32_e32 v40, 2, v42
	v_cmpx_eq_u32_e64 v41, v0
	s_cbranch_execz .LBB27_4
; %bb.3:
	ds_store_b32 v40, v8 offset:20736
.LBB27_4:
	s_or_b32 exec_lo, exec_lo, s0
	s_delay_alu instid0(SALU_CYCLE_1)
	s_mov_b32 s0, exec_lo
	s_waitcnt lgkmcnt(0)
	s_barrier
	buffer_gl0_inv
	v_cmpx_gt_u32_e32 6, v0
	s_cbranch_execz .LBB27_6
; %bb.5:
	v_lshlrev_b32_e32 v41, 2, v0
	ds_load_b32 v42, v41 offset:20736
	s_waitcnt lgkmcnt(0)
	v_mov_b32_dpp v44, v42 row_shr:1 row_mask:0xf bank_mask:0xf
	v_and_b32_e32 v43, 7, v39
	s_delay_alu instid0(VALU_DEP_1) | instskip(NEXT) | instid1(VALU_DEP_3)
	v_cmp_ne_u32_e32 vcc_lo, 0, v43
	v_cndmask_b32_e32 v44, 0, v44, vcc_lo
	v_cmp_lt_u32_e32 vcc_lo, 1, v43
	s_delay_alu instid0(VALU_DEP_2) | instskip(NEXT) | instid1(VALU_DEP_1)
	v_add_nc_u32_e32 v42, v44, v42
	v_mov_b32_dpp v44, v42 row_shr:2 row_mask:0xf bank_mask:0xf
	s_delay_alu instid0(VALU_DEP_1) | instskip(SKIP_1) | instid1(VALU_DEP_2)
	v_cndmask_b32_e32 v44, 0, v44, vcc_lo
	v_cmp_lt_u32_e32 vcc_lo, 3, v43
	v_add_nc_u32_e32 v42, v42, v44
	s_delay_alu instid0(VALU_DEP_1) | instskip(NEXT) | instid1(VALU_DEP_1)
	v_mov_b32_dpp v44, v42 row_shr:4 row_mask:0xf bank_mask:0xf
	v_cndmask_b32_e32 v43, 0, v44, vcc_lo
	s_delay_alu instid0(VALU_DEP_1)
	v_add_nc_u32_e32 v42, v42, v43
	ds_store_b32 v41, v42 offset:20736
.LBB27_6:
	s_or_b32 exec_lo, exec_lo, s0
	v_cmp_lt_u32_e32 vcc_lo, 31, v0
	v_dual_mov_b32 v0, 0 :: v_dual_mov_b32 v41, 0
	s_waitcnt lgkmcnt(0)
	s_barrier
	buffer_gl0_inv
	s_and_saveexec_b32 s0, vcc_lo
	s_cbranch_execz .LBB27_8
; %bb.7:
	ds_load_b32 v41, v40 offset:20732
.LBB27_8:
	s_or_b32 exec_lo, exec_lo, s0
	v_add_nc_u32_e32 v40, -1, v39
	s_waitcnt lgkmcnt(0)
	v_add_nc_u32_e32 v8, v41, v8
	ds_load_b32 v0, v0 offset:20756
	s_add_u32 s0, s6, s2
	s_addc_u32 s1, s7, s3
	v_cmp_gt_i32_e32 vcc_lo, 0, v40
	v_cndmask_b32_e32 v40, v40, v39, vcc_lo
	v_cmp_eq_u32_e32 vcc_lo, 0, v39
	s_delay_alu instid0(VALU_DEP_2) | instskip(SKIP_3) | instid1(VALU_DEP_1)
	v_lshlrev_b32_e32 v40, 2, v40
	ds_bpermute_b32 v8, v40, v8
	s_waitcnt lgkmcnt(0)
	v_cndmask_b32_e32 v8, v8, v41, vcc_lo
	v_lshl_add_u32 v0, v0, 16, v8
	s_delay_alu instid0(VALU_DEP_1) | instskip(NEXT) | instid1(VALU_DEP_1)
	v_add_nc_u32_e32 v8, v0, v9
	v_add_nc_u32_e32 v9, v8, v10
	s_delay_alu instid0(VALU_DEP_1) | instskip(NEXT) | instid1(VALU_DEP_1)
	v_add_nc_u32_e32 v5, v9, v5
	v_add_nc_u32_e32 v6, v5, v6
	s_delay_alu instid0(VALU_DEP_1) | instskip(NEXT) | instid1(VALU_DEP_1)
	v_add_nc_u32_e32 v3, v6, v3
	v_add_nc_u32_e32 v4, v3, v4
	s_delay_alu instid0(VALU_DEP_1)
	v_add_nc_u32_e32 v1, v4, v1
	ds_store_2addr_b32 v38, v0, v8 offset1:1
	ds_store_2addr_b32 v38, v9, v5 offset0:2 offset1:3
	ds_store_2addr_b32 v38, v6, v3 offset0:4 offset1:5
	;; [unrolled: 1-line block ×3, first 2 shown]
	v_and_b32_e32 v3, 0xffff, v37
	v_add_nc_u32_e32 v2, v1, v2
	s_delay_alu instid0(VALU_DEP_1) | instskip(NEXT) | instid1(VALU_DEP_1)
	v_add_nc_u32_e32 v10, v2, v13
	v_add_nc_u32_e32 v13, v10, v14
	s_delay_alu instid0(VALU_DEP_1) | instskip(NEXT) | instid1(VALU_DEP_1)
	v_add_nc_u32_e32 v14, v13, v15
	;; [unrolled: 3-line block ×3, first 2 shown]
	v_add_nc_u32_e32 v17, v16, v18
	s_delay_alu instid0(VALU_DEP_1)
	v_add_nc_u32_e32 v18, v17, v19
	ds_store_2addr_b32 v38, v2, v10 offset0:8 offset1:9
	ds_store_2addr_b32 v38, v13, v14 offset0:10 offset1:11
	;; [unrolled: 1-line block ×4, first 2 shown]
	v_and_b32_e32 v2, 0xffff, v34
	v_add_nc_u32_e32 v19, v18, v20
	s_delay_alu instid0(VALU_DEP_1) | instskip(NEXT) | instid1(VALU_DEP_1)
	v_add_nc_u32_e32 v20, v19, v21
	v_add_nc_u32_e32 v21, v20, v22
	s_delay_alu instid0(VALU_DEP_1) | instskip(NEXT) | instid1(VALU_DEP_1)
	v_add_nc_u32_e32 v22, v21, v23
	;; [unrolled: 3-line block ×7, first 2 shown]
	v_add_nc_u32_e32 v0, v11, v12
	s_delay_alu instid0(VALU_DEP_1)
	v_add_nc_u32_e32 v1, v0, v7
	ds_store_2addr_b32 v38, v19, v20 offset0:16 offset1:17
	ds_store_2addr_b32 v38, v21, v22 offset0:18 offset1:19
	;; [unrolled: 1-line block ×8, first 2 shown]
	s_waitcnt lgkmcnt(0)
	s_barrier
	buffer_gl0_inv
	ds_load_u16 v0, v35
	ds_load_u16 v1, v36
	s_waitcnt lgkmcnt(1)
	v_add_nc_u32_e32 v0, v0, v2
	s_waitcnt lgkmcnt(0)
	v_add_nc_u32_e32 v1, v1, v3
	v_lshlrev_b32_e32 v2, 2, v33
	global_store_b64 v2, v[0:1], s[0:1]
	s_nop 0
	s_sendmsg sendmsg(MSG_DEALLOC_VGPRS)
	s_endpgm
	.section	.rodata,"a",@progbits
	.p2align	6, 0x0
	.amdhsa_kernel _Z11rank_kernelILj162ELj2ELj6ELb1EL18RadixRankAlgorithm1EjEvPKT4_Pijj
		.amdhsa_group_segment_fixed_size 20768
		.amdhsa_private_segment_fixed_size 0
		.amdhsa_kernarg_size 24
		.amdhsa_user_sgpr_count 15
		.amdhsa_user_sgpr_dispatch_ptr 0
		.amdhsa_user_sgpr_queue_ptr 0
		.amdhsa_user_sgpr_kernarg_segment_ptr 1
		.amdhsa_user_sgpr_dispatch_id 0
		.amdhsa_user_sgpr_private_segment_size 0
		.amdhsa_wavefront_size32 1
		.amdhsa_uses_dynamic_stack 0
		.amdhsa_enable_private_segment 0
		.amdhsa_system_sgpr_workgroup_id_x 1
		.amdhsa_system_sgpr_workgroup_id_y 0
		.amdhsa_system_sgpr_workgroup_id_z 0
		.amdhsa_system_sgpr_workgroup_info 0
		.amdhsa_system_vgpr_workitem_id 0
		.amdhsa_next_free_vgpr 45
		.amdhsa_next_free_sgpr 16
		.amdhsa_reserve_vcc 1
		.amdhsa_float_round_mode_32 0
		.amdhsa_float_round_mode_16_64 0
		.amdhsa_float_denorm_mode_32 3
		.amdhsa_float_denorm_mode_16_64 3
		.amdhsa_dx10_clamp 1
		.amdhsa_ieee_mode 1
		.amdhsa_fp16_overflow 0
		.amdhsa_workgroup_processor_mode 1
		.amdhsa_memory_ordered 1
		.amdhsa_forward_progress 0
		.amdhsa_shared_vgpr_count 0
		.amdhsa_exception_fp_ieee_invalid_op 0
		.amdhsa_exception_fp_denorm_src 0
		.amdhsa_exception_fp_ieee_div_zero 0
		.amdhsa_exception_fp_ieee_overflow 0
		.amdhsa_exception_fp_ieee_underflow 0
		.amdhsa_exception_fp_ieee_inexact 0
		.amdhsa_exception_int_div_zero 0
	.end_amdhsa_kernel
	.section	.text._Z11rank_kernelILj162ELj2ELj6ELb1EL18RadixRankAlgorithm1EjEvPKT4_Pijj,"axG",@progbits,_Z11rank_kernelILj162ELj2ELj6ELb1EL18RadixRankAlgorithm1EjEvPKT4_Pijj,comdat
.Lfunc_end27:
	.size	_Z11rank_kernelILj162ELj2ELj6ELb1EL18RadixRankAlgorithm1EjEvPKT4_Pijj, .Lfunc_end27-_Z11rank_kernelILj162ELj2ELj6ELb1EL18RadixRankAlgorithm1EjEvPKT4_Pijj
                                        ; -- End function
	.section	.AMDGPU.csdata,"",@progbits
; Kernel info:
; codeLenInByte = 1596
; NumSgprs: 18
; NumVgprs: 45
; ScratchSize: 0
; MemoryBound: 0
; FloatMode: 240
; IeeeMode: 1
; LDSByteSize: 20768 bytes/workgroup (compile time only)
; SGPRBlocks: 2
; VGPRBlocks: 5
; NumSGPRsForWavesPerEU: 18
; NumVGPRsForWavesPerEU: 45
; Occupancy: 9
; WaveLimiterHint : 0
; COMPUTE_PGM_RSRC2:SCRATCH_EN: 0
; COMPUTE_PGM_RSRC2:USER_SGPR: 15
; COMPUTE_PGM_RSRC2:TRAP_HANDLER: 0
; COMPUTE_PGM_RSRC2:TGID_X_EN: 1
; COMPUTE_PGM_RSRC2:TGID_Y_EN: 0
; COMPUTE_PGM_RSRC2:TGID_Z_EN: 0
; COMPUTE_PGM_RSRC2:TIDIG_COMP_CNT: 0
	.section	.text._Z11rank_kernelILj60ELj1ELj3ELb1EL18RadixRankAlgorithm1EfEvPKT4_Pijj,"axG",@progbits,_Z11rank_kernelILj60ELj1ELj3ELb1EL18RadixRankAlgorithm1EfEvPKT4_Pijj,comdat
	.protected	_Z11rank_kernelILj60ELj1ELj3ELb1EL18RadixRankAlgorithm1EfEvPKT4_Pijj ; -- Begin function _Z11rank_kernelILj60ELj1ELj3ELb1EL18RadixRankAlgorithm1EfEvPKT4_Pijj
	.globl	_Z11rank_kernelILj60ELj1ELj3ELb1EL18RadixRankAlgorithm1EfEvPKT4_Pijj
	.p2align	8
	.type	_Z11rank_kernelILj60ELj1ELj3ELb1EL18RadixRankAlgorithm1EfEvPKT4_Pijj,@function
_Z11rank_kernelILj60ELj1ELj3ELb1EL18RadixRankAlgorithm1EfEvPKT4_Pijj: ; @_Z11rank_kernelILj60ELj1ELj3ELb1EL18RadixRankAlgorithm1EfEvPKT4_Pijj
; %bb.0:
	s_load_b128 s[4:7], s[0:1], 0x0
	s_mul_i32 s2, s15, 60
	s_mov_b32 s3, 0
	v_lshlrev_b32_e32 v5, 2, v0
	s_lshl_b64 s[2:3], s[2:3], 2
                                        ; implicit-def: $vgpr2
	s_waitcnt lgkmcnt(0)
	s_add_u32 s4, s4, s2
	s_addc_u32 s5, s5, s3
	global_load_b32 v1, v5, s[4:5]
	s_mov_b32 s4, exec_lo
	v_cmpx_lt_u32_e32 0xef, v0
	s_xor_b32 s4, exec_lo, s4
; %bb.1:
	v_lshlrev_b32_e32 v2, 2, v0
; %bb.2:
	s_and_not1_saveexec_b32 s4, s4
	s_cbranch_execz .LBB28_6
; %bb.3:
	v_subrev_nc_u32_e32 v2, 60, v0
	v_dual_mov_b32 v3, 0 :: v_dual_mov_b32 v4, v5
	s_mov_b32 s5, 0
.LBB28_4:                               ; =>This Inner Loop Header: Depth=1
	s_delay_alu instid0(VALU_DEP_2) | instskip(SKIP_4) | instid1(SALU_CYCLE_1)
	v_add_nc_u32_e32 v2, 60, v2
	ds_store_b32 v4, v3
	v_add_nc_u32_e32 v4, 0xf0, v4
	v_cmp_lt_u32_e32 vcc_lo, 0xb3, v2
	s_or_b32 s5, vcc_lo, s5
	s_and_not1_b32 exec_lo, exec_lo, s5
	s_cbranch_execnz .LBB28_4
; %bb.5:
	s_or_b32 exec_lo, exec_lo, s5
	v_mov_b32_e32 v2, v5
.LBB28_6:
	s_or_b32 exec_lo, exec_lo, s4
	s_load_b64 s[0:1], s[0:1], 0x10
	s_waitcnt vmcnt(0)
	v_cmp_lt_i32_e32 vcc_lo, -1, v1
	v_mbcnt_lo_u32_b32 v9, -1, 0
	v_lshlrev_b32_e32 v8, 2, v2
	v_cndmask_b32_e64 v3, -1, 0x80000000, vcc_lo
	s_delay_alu instid0(VALU_DEP_3) | instskip(NEXT) | instid1(VALU_DEP_2)
	v_bfe_i32 v12, v9, 4, 1
	v_xor_b32_e32 v1, v3, v1
	s_delay_alu instid0(VALU_DEP_1)
	v_cmp_ne_u32_e32 vcc_lo, 0x7fffffff, v1
	s_waitcnt lgkmcnt(0)
	s_and_b32 s1, s1, 31
	s_and_b32 s0, s0, 31
	v_cndmask_b32_e32 v1, 0x80000000, v1, vcc_lo
	s_add_i32 s0, s0, s1
	s_delay_alu instid0(SALU_CYCLE_1)
	s_sub_i32 s0, 32, s0
	s_delay_alu instid0(VALU_DEP_1) | instid1(SALU_CYCLE_1)
	v_lshlrev_b32_e32 v1, s0, v1
	s_sub_i32 s0, 32, s1
	s_cmp_lg_u32 s1, 0
	s_cselect_b32 vcc_lo, -1, 0
	s_delay_alu instid0(VALU_DEP_1) | instskip(SKIP_1) | instid1(VALU_DEP_1)
	v_lshrrev_b32_e32 v1, s0, v1
	s_mov_b32 s0, exec_lo
	v_xor_b32_e32 v1, 7, v1
	s_delay_alu instid0(VALU_DEP_1) | instskip(NEXT) | instid1(VALU_DEP_1)
	v_cndmask_b32_e32 v1, 7, v1, vcc_lo
	v_and_b32_e32 v3, 3, v1
	v_lshrrev_b32_e32 v1, 2, v1
	s_delay_alu instid0(VALU_DEP_2) | instskip(NEXT) | instid1(VALU_DEP_1)
	v_mul_u32_u24_e32 v3, 60, v3
	v_add_lshl_u32 v3, v3, v0, 1
	s_delay_alu instid0(VALU_DEP_1)
	v_add_lshl_u32 v6, v3, v1, 1
	ds_load_u16 v7, v6
	s_waitcnt lgkmcnt(0)
	v_add_nc_u16 v1, v7, 1
	ds_store_b16 v6, v1
	s_waitcnt lgkmcnt(0)
	s_barrier
	buffer_gl0_inv
	ds_load_2addr_b32 v[1:2], v8 offset1:1
	ds_load_2addr_b32 v[3:4], v8 offset0:2 offset1:3
	s_waitcnt lgkmcnt(1)
	v_add_nc_u32_e32 v10, v2, v1
	s_waitcnt lgkmcnt(0)
	s_delay_alu instid0(VALU_DEP_1) | instskip(SKIP_1) | instid1(VALU_DEP_2)
	v_add3_u32 v4, v10, v3, v4
	v_and_b32_e32 v10, 15, v9
	v_mov_b32_dpp v11, v4 row_shr:1 row_mask:0xf bank_mask:0xf
	s_delay_alu instid0(VALU_DEP_2) | instskip(NEXT) | instid1(VALU_DEP_2)
	v_cmp_ne_u32_e32 vcc_lo, 0, v10
	v_cndmask_b32_e32 v11, 0, v11, vcc_lo
	v_cmp_lt_u32_e32 vcc_lo, 1, v10
	s_delay_alu instid0(VALU_DEP_2) | instskip(NEXT) | instid1(VALU_DEP_1)
	v_add_nc_u32_e32 v4, v11, v4
	v_mov_b32_dpp v11, v4 row_shr:2 row_mask:0xf bank_mask:0xf
	s_delay_alu instid0(VALU_DEP_1) | instskip(SKIP_1) | instid1(VALU_DEP_2)
	v_cndmask_b32_e32 v11, 0, v11, vcc_lo
	v_cmp_lt_u32_e32 vcc_lo, 3, v10
	v_add_nc_u32_e32 v4, v4, v11
	s_delay_alu instid0(VALU_DEP_1) | instskip(NEXT) | instid1(VALU_DEP_1)
	v_mov_b32_dpp v11, v4 row_shr:4 row_mask:0xf bank_mask:0xf
	v_cndmask_b32_e32 v11, 0, v11, vcc_lo
	v_cmp_lt_u32_e32 vcc_lo, 7, v10
	s_delay_alu instid0(VALU_DEP_2) | instskip(NEXT) | instid1(VALU_DEP_1)
	v_add_nc_u32_e32 v4, v4, v11
	v_mov_b32_dpp v11, v4 row_shr:8 row_mask:0xf bank_mask:0xf
	s_delay_alu instid0(VALU_DEP_1) | instskip(NEXT) | instid1(VALU_DEP_1)
	v_dual_cndmask_b32 v10, 0, v11 :: v_dual_and_b32 v11, 32, v0
	v_add_nc_u32_e32 v4, v4, v10
	s_delay_alu instid0(VALU_DEP_2)
	v_min_u32_e32 v11, 28, v11
	ds_swizzle_b32 v10, v4 offset:swizzle(BROADCAST,32,15)
	v_add_nc_u32_e32 v11, 31, v11
	s_waitcnt lgkmcnt(0)
	v_and_b32_e32 v10, v12, v10
	v_lshrrev_b32_e32 v12, 5, v0
	s_delay_alu instid0(VALU_DEP_2) | instskip(NEXT) | instid1(VALU_DEP_2)
	v_add_nc_u32_e32 v4, v4, v10
	v_lshlrev_b32_e32 v10, 2, v12
	v_cmpx_eq_u32_e64 v11, v0
	s_cbranch_execz .LBB28_8
; %bb.7:
	ds_store_b32 v10, v4 offset:960
.LBB28_8:
	s_or_b32 exec_lo, exec_lo, s0
	s_delay_alu instid0(SALU_CYCLE_1)
	s_mov_b32 s0, exec_lo
	s_waitcnt lgkmcnt(0)
	s_barrier
	buffer_gl0_inv
	v_cmpx_gt_u32_e32 2, v0
	s_cbranch_execz .LBB28_10
; %bb.9:
	ds_load_b32 v11, v5 offset:960
	v_bfe_i32 v12, v9, 0, 1
	s_waitcnt lgkmcnt(0)
	v_mov_b32_dpp v13, v11 row_shr:1 row_mask:0xf bank_mask:0xf
	s_delay_alu instid0(VALU_DEP_1) | instskip(NEXT) | instid1(VALU_DEP_1)
	v_and_b32_e32 v12, v12, v13
	v_add_nc_u32_e32 v11, v12, v11
	ds_store_b32 v5, v11 offset:960
.LBB28_10:
	s_or_b32 exec_lo, exec_lo, s0
	v_cmp_lt_u32_e32 vcc_lo, 31, v0
	v_dual_mov_b32 v0, 0 :: v_dual_mov_b32 v11, 0
	s_waitcnt lgkmcnt(0)
	s_barrier
	buffer_gl0_inv
	s_and_saveexec_b32 s0, vcc_lo
	s_cbranch_execz .LBB28_12
; %bb.11:
	ds_load_b32 v11, v10 offset:956
.LBB28_12:
	s_or_b32 exec_lo, exec_lo, s0
	v_add_nc_u32_e32 v10, -1, v9
	s_waitcnt lgkmcnt(0)
	v_add_nc_u32_e32 v4, v11, v4
	ds_load_b32 v0, v0 offset:964
	s_add_u32 s0, s6, s2
	s_addc_u32 s1, s7, s3
	v_cmp_gt_i32_e32 vcc_lo, 0, v10
	v_cndmask_b32_e32 v10, v10, v9, vcc_lo
	v_cmp_eq_u32_e32 vcc_lo, 0, v9
	s_delay_alu instid0(VALU_DEP_2) | instskip(SKIP_3) | instid1(VALU_DEP_1)
	v_lshlrev_b32_e32 v10, 2, v10
	ds_bpermute_b32 v4, v10, v4
	s_waitcnt lgkmcnt(0)
	v_cndmask_b32_e32 v4, v4, v11, vcc_lo
	v_lshl_add_u32 v0, v0, 16, v4
	s_delay_alu instid0(VALU_DEP_1) | instskip(NEXT) | instid1(VALU_DEP_1)
	v_add_nc_u32_e32 v1, v0, v1
	v_add_nc_u32_e32 v2, v1, v2
	s_delay_alu instid0(VALU_DEP_1)
	v_add_nc_u32_e32 v3, v2, v3
	ds_store_2addr_b32 v8, v0, v1 offset1:1
	ds_store_2addr_b32 v8, v2, v3 offset0:2 offset1:3
	v_and_b32_e32 v1, 0xffff, v7
	s_waitcnt lgkmcnt(0)
	s_barrier
	buffer_gl0_inv
	ds_load_u16 v0, v6
	s_waitcnt lgkmcnt(0)
	v_add_nc_u32_e32 v0, v0, v1
	global_store_b32 v5, v0, s[0:1]
	s_nop 0
	s_sendmsg sendmsg(MSG_DEALLOC_VGPRS)
	s_endpgm
	.section	.rodata,"a",@progbits
	.p2align	6, 0x0
	.amdhsa_kernel _Z11rank_kernelILj60ELj1ELj3ELb1EL18RadixRankAlgorithm1EfEvPKT4_Pijj
		.amdhsa_group_segment_fixed_size 976
		.amdhsa_private_segment_fixed_size 0
		.amdhsa_kernarg_size 24
		.amdhsa_user_sgpr_count 15
		.amdhsa_user_sgpr_dispatch_ptr 0
		.amdhsa_user_sgpr_queue_ptr 0
		.amdhsa_user_sgpr_kernarg_segment_ptr 1
		.amdhsa_user_sgpr_dispatch_id 0
		.amdhsa_user_sgpr_private_segment_size 0
		.amdhsa_wavefront_size32 1
		.amdhsa_uses_dynamic_stack 0
		.amdhsa_enable_private_segment 0
		.amdhsa_system_sgpr_workgroup_id_x 1
		.amdhsa_system_sgpr_workgroup_id_y 0
		.amdhsa_system_sgpr_workgroup_id_z 0
		.amdhsa_system_sgpr_workgroup_info 0
		.amdhsa_system_vgpr_workitem_id 0
		.amdhsa_next_free_vgpr 14
		.amdhsa_next_free_sgpr 16
		.amdhsa_reserve_vcc 1
		.amdhsa_float_round_mode_32 0
		.amdhsa_float_round_mode_16_64 0
		.amdhsa_float_denorm_mode_32 3
		.amdhsa_float_denorm_mode_16_64 3
		.amdhsa_dx10_clamp 1
		.amdhsa_ieee_mode 1
		.amdhsa_fp16_overflow 0
		.amdhsa_workgroup_processor_mode 1
		.amdhsa_memory_ordered 1
		.amdhsa_forward_progress 0
		.amdhsa_shared_vgpr_count 0
		.amdhsa_exception_fp_ieee_invalid_op 0
		.amdhsa_exception_fp_denorm_src 0
		.amdhsa_exception_fp_ieee_div_zero 0
		.amdhsa_exception_fp_ieee_overflow 0
		.amdhsa_exception_fp_ieee_underflow 0
		.amdhsa_exception_fp_ieee_inexact 0
		.amdhsa_exception_int_div_zero 0
	.end_amdhsa_kernel
	.section	.text._Z11rank_kernelILj60ELj1ELj3ELb1EL18RadixRankAlgorithm1EfEvPKT4_Pijj,"axG",@progbits,_Z11rank_kernelILj60ELj1ELj3ELb1EL18RadixRankAlgorithm1EfEvPKT4_Pijj,comdat
.Lfunc_end28:
	.size	_Z11rank_kernelILj60ELj1ELj3ELb1EL18RadixRankAlgorithm1EfEvPKT4_Pijj, .Lfunc_end28-_Z11rank_kernelILj60ELj1ELj3ELb1EL18RadixRankAlgorithm1EfEvPKT4_Pijj
                                        ; -- End function
	.section	.AMDGPU.csdata,"",@progbits
; Kernel info:
; codeLenInByte = 888
; NumSgprs: 18
; NumVgprs: 14
; ScratchSize: 0
; MemoryBound: 0
; FloatMode: 240
; IeeeMode: 1
; LDSByteSize: 976 bytes/workgroup (compile time only)
; SGPRBlocks: 2
; VGPRBlocks: 1
; NumSGPRsForWavesPerEU: 18
; NumVGPRsForWavesPerEU: 14
; Occupancy: 16
; WaveLimiterHint : 0
; COMPUTE_PGM_RSRC2:SCRATCH_EN: 0
; COMPUTE_PGM_RSRC2:USER_SGPR: 15
; COMPUTE_PGM_RSRC2:TRAP_HANDLER: 0
; COMPUTE_PGM_RSRC2:TGID_X_EN: 1
; COMPUTE_PGM_RSRC2:TGID_Y_EN: 0
; COMPUTE_PGM_RSRC2:TGID_Z_EN: 0
; COMPUTE_PGM_RSRC2:TIDIG_COMP_CNT: 0
	.section	.text._Z11rank_kernelILj102ELj3ELj3ELb1EL18RadixRankAlgorithm1EtEvPKT4_Pijj,"axG",@progbits,_Z11rank_kernelILj102ELj3ELj3ELb1EL18RadixRankAlgorithm1EtEvPKT4_Pijj,comdat
	.protected	_Z11rank_kernelILj102ELj3ELj3ELb1EL18RadixRankAlgorithm1EtEvPKT4_Pijj ; -- Begin function _Z11rank_kernelILj102ELj3ELj3ELb1EL18RadixRankAlgorithm1EtEvPKT4_Pijj
	.globl	_Z11rank_kernelILj102ELj3ELj3ELb1EL18RadixRankAlgorithm1EtEvPKT4_Pijj
	.p2align	8
	.type	_Z11rank_kernelILj102ELj3ELj3ELb1EL18RadixRankAlgorithm1EtEvPKT4_Pijj,@function
_Z11rank_kernelILj102ELj3ELj3ELb1EL18RadixRankAlgorithm1EtEvPKT4_Pijj: ; @_Z11rank_kernelILj102ELj3ELj3ELb1EL18RadixRankAlgorithm1EtEvPKT4_Pijj
; %bb.0:
	s_load_b128 s[4:7], s[0:1], 0x0
	v_mul_u32_u24_e32 v5, 3, v0
	s_mov_b32 s3, 0
	s_mul_i32 s2, s15, 0x132
	v_lshlrev_b32_e32 v6, 2, v0
	s_lshl_b64 s[8:9], s[2:3], 1
	v_lshlrev_b32_e32 v2, 1, v5
	s_waitcnt lgkmcnt(0)
	s_add_u32 s4, s4, s8
	s_addc_u32 s5, s5, s9
	s_clause 0x1
	global_load_d16_b16 v1, v2, s[4:5] offset:4
	global_load_b32 v3, v2, s[4:5]
	s_mov_b32 s4, exec_lo
                                        ; implicit-def: $vgpr2
	v_cmpx_lt_u32_e32 0x197, v0
	s_xor_b32 s4, exec_lo, s4
; %bb.1:
	v_lshlrev_b32_e32 v2, 2, v0
; %bb.2:
	s_and_not1_saveexec_b32 s4, s4
	s_cbranch_execz .LBB29_6
; %bb.3:
	v_dual_mov_b32 v7, v6 :: v_dual_add_nc_u32 v2, 0xffffff9a, v0
	v_mov_b32_e32 v4, 0
	s_mov_b32 s5, 0
.LBB29_4:                               ; =>This Inner Loop Header: Depth=1
	s_delay_alu instid0(VALU_DEP_2) | instskip(SKIP_4) | instid1(SALU_CYCLE_1)
	v_add_nc_u32_e32 v2, 0x66, v2
	ds_store_b32 v7, v4
	v_add_nc_u32_e32 v7, 0x198, v7
	v_cmp_lt_u32_e32 vcc_lo, 0x131, v2
	s_or_b32 s5, vcc_lo, s5
	s_and_not1_b32 exec_lo, exec_lo, s5
	s_cbranch_execnz .LBB29_4
; %bb.5:
	s_or_b32 exec_lo, exec_lo, s5
	v_mov_b32_e32 v2, v6
.LBB29_6:
	s_or_b32 exec_lo, exec_lo, s4
	s_load_b64 s[0:1], s[0:1], 0x10
	s_waitcnt vmcnt(0)
	v_and_b32_e32 v4, 0xffff, v3
	v_lshrrev_b32_e32 v3, 16, v3
	v_and_b32_e32 v1, 0xffff, v1
	v_lshlrev_b32_e32 v13, 2, v2
	v_mbcnt_lo_u32_b32 v14, -1, 0
	s_delay_alu instid0(VALU_DEP_1) | instskip(SKIP_2) | instid1(SALU_CYCLE_1)
	v_bfe_i32 v17, v14, 4, 1
	s_waitcnt lgkmcnt(0)
	s_and_b32 s1, s1, 31
	s_cmp_eq_u32 s1, 0
	s_cselect_b32 s4, -1, 0
	s_and_b32 s0, s0, 31
	s_delay_alu instid0(SALU_CYCLE_1) | instskip(SKIP_2) | instid1(SALU_CYCLE_1)
	s_add_i32 s0, s0, s1
	s_sub_i32 s1, 32, s1
	s_sub_i32 s0, 32, s0
	v_lshlrev_b32_e32 v4, s0, v4
	v_lshlrev_b32_e32 v3, s0, v3
	;; [unrolled: 1-line block ×3, first 2 shown]
	s_mov_b32 s0, exec_lo
	s_delay_alu instid0(VALU_DEP_3) | instskip(NEXT) | instid1(VALU_DEP_3)
	v_bfe_u32 v4, v4, s1, 16
	v_bfe_u32 v3, v3, s1, 16
	s_delay_alu instid0(VALU_DEP_3) | instskip(NEXT) | instid1(VALU_DEP_3)
	v_bfe_u32 v1, v1, s1, 16
	v_xor_b32_e32 v4, 7, v4
	s_delay_alu instid0(VALU_DEP_3) | instskip(NEXT) | instid1(VALU_DEP_3)
	v_xor_b32_e32 v3, 7, v3
	v_xor_b32_e32 v1, 7, v1
	s_delay_alu instid0(VALU_DEP_3) | instskip(NEXT) | instid1(VALU_DEP_3)
	v_cndmask_b32_e64 v4, v4, 7, s4
	v_cndmask_b32_e64 v3, v3, 7, s4
	s_delay_alu instid0(VALU_DEP_3) | instskip(NEXT) | instid1(VALU_DEP_3)
	v_cndmask_b32_e64 v1, v1, 7, s4
	v_and_b32_e32 v7, 3, v4
	v_lshrrev_b32_e32 v4, 2, v4
	s_delay_alu instid0(VALU_DEP_2) | instskip(NEXT) | instid1(VALU_DEP_1)
	v_mul_u32_u24_e32 v7, 0x66, v7
	v_add_lshl_u32 v7, v7, v0, 1
	s_delay_alu instid0(VALU_DEP_1) | instskip(SKIP_4) | instid1(VALU_DEP_1)
	v_add_lshl_u32 v8, v7, v4, 1
	v_and_b32_e32 v4, 3, v3
	v_lshrrev_b32_e32 v3, 2, v3
	ds_load_u16 v7, v8
	v_mul_u32_u24_e32 v4, 0x66, v4
	v_add_lshl_u32 v4, v4, v0, 1
	s_delay_alu instid0(VALU_DEP_1) | instskip(SKIP_2) | instid1(VALU_DEP_2)
	v_add_lshl_u32 v10, v4, v3, 1
	v_and_b32_e32 v3, 3, v1
	v_lshrrev_b32_e32 v1, 2, v1
	v_mul_u32_u24_e32 v3, 0x66, v3
	s_waitcnt lgkmcnt(0)
	v_add_nc_u16 v9, v7, 1
	s_delay_alu instid0(VALU_DEP_2)
	v_add_lshl_u32 v3, v3, v0, 1
	ds_store_b16 v8, v9
	ds_load_u16 v9, v10
	v_add_lshl_u32 v12, v3, v1, 1
	s_waitcnt lgkmcnt(0)
	v_add_nc_u16 v4, v9, 1
	ds_store_b16 v10, v4
	ds_load_u16 v11, v12
	s_waitcnt lgkmcnt(0)
	v_add_nc_u16 v1, v11, 1
	ds_store_b16 v12, v1
	s_waitcnt lgkmcnt(0)
	s_barrier
	buffer_gl0_inv
	ds_load_2addr_b32 v[1:2], v13 offset1:1
	ds_load_2addr_b32 v[3:4], v13 offset0:2 offset1:3
	s_waitcnt lgkmcnt(1)
	v_add_nc_u32_e32 v15, v2, v1
	s_waitcnt lgkmcnt(0)
	s_delay_alu instid0(VALU_DEP_1) | instskip(SKIP_1) | instid1(VALU_DEP_2)
	v_add3_u32 v4, v15, v3, v4
	v_and_b32_e32 v15, 15, v14
	v_mov_b32_dpp v16, v4 row_shr:1 row_mask:0xf bank_mask:0xf
	s_delay_alu instid0(VALU_DEP_2) | instskip(NEXT) | instid1(VALU_DEP_2)
	v_cmp_ne_u32_e32 vcc_lo, 0, v15
	v_cndmask_b32_e32 v16, 0, v16, vcc_lo
	v_cmp_lt_u32_e32 vcc_lo, 1, v15
	s_delay_alu instid0(VALU_DEP_2) | instskip(NEXT) | instid1(VALU_DEP_1)
	v_add_nc_u32_e32 v4, v16, v4
	v_mov_b32_dpp v16, v4 row_shr:2 row_mask:0xf bank_mask:0xf
	s_delay_alu instid0(VALU_DEP_1) | instskip(SKIP_1) | instid1(VALU_DEP_2)
	v_cndmask_b32_e32 v16, 0, v16, vcc_lo
	v_cmp_lt_u32_e32 vcc_lo, 3, v15
	v_add_nc_u32_e32 v4, v4, v16
	s_delay_alu instid0(VALU_DEP_1) | instskip(NEXT) | instid1(VALU_DEP_1)
	v_mov_b32_dpp v16, v4 row_shr:4 row_mask:0xf bank_mask:0xf
	v_cndmask_b32_e32 v16, 0, v16, vcc_lo
	v_cmp_lt_u32_e32 vcc_lo, 7, v15
	s_delay_alu instid0(VALU_DEP_2) | instskip(NEXT) | instid1(VALU_DEP_1)
	v_add_nc_u32_e32 v4, v4, v16
	v_mov_b32_dpp v16, v4 row_shr:8 row_mask:0xf bank_mask:0xf
	s_delay_alu instid0(VALU_DEP_1) | instskip(SKIP_1) | instid1(VALU_DEP_2)
	v_cndmask_b32_e32 v15, 0, v16, vcc_lo
	v_and_b32_e32 v16, 0x60, v0
	v_add_nc_u32_e32 v4, v4, v15
	s_delay_alu instid0(VALU_DEP_2)
	v_min_u32_e32 v16, 0x46, v16
	ds_swizzle_b32 v15, v4 offset:swizzle(BROADCAST,32,15)
	v_add_nc_u32_e32 v16, 31, v16
	s_waitcnt lgkmcnt(0)
	v_and_b32_e32 v15, v17, v15
	v_lshrrev_b32_e32 v17, 5, v0
	s_delay_alu instid0(VALU_DEP_2) | instskip(NEXT) | instid1(VALU_DEP_2)
	v_add_nc_u32_e32 v4, v4, v15
	v_lshlrev_b32_e32 v15, 2, v17
	v_cmpx_eq_u32_e64 v16, v0
	s_cbranch_execz .LBB29_8
; %bb.7:
	ds_store_b32 v15, v4 offset:1632
.LBB29_8:
	s_or_b32 exec_lo, exec_lo, s0
	s_delay_alu instid0(SALU_CYCLE_1)
	s_mov_b32 s0, exec_lo
	s_waitcnt lgkmcnt(0)
	s_barrier
	buffer_gl0_inv
	v_cmpx_gt_u32_e32 4, v0
	s_cbranch_execz .LBB29_10
; %bb.9:
	ds_load_b32 v16, v6 offset:1632
	v_and_b32_e32 v17, 3, v14
	s_delay_alu instid0(VALU_DEP_1) | instskip(SKIP_2) | instid1(VALU_DEP_1)
	v_cmp_ne_u32_e32 vcc_lo, 0, v17
	s_waitcnt lgkmcnt(0)
	v_mov_b32_dpp v18, v16 row_shr:1 row_mask:0xf bank_mask:0xf
	v_cndmask_b32_e32 v18, 0, v18, vcc_lo
	v_cmp_lt_u32_e32 vcc_lo, 1, v17
	s_delay_alu instid0(VALU_DEP_2) | instskip(NEXT) | instid1(VALU_DEP_1)
	v_add_nc_u32_e32 v16, v18, v16
	v_mov_b32_dpp v18, v16 row_shr:2 row_mask:0xf bank_mask:0xf
	s_delay_alu instid0(VALU_DEP_1) | instskip(NEXT) | instid1(VALU_DEP_1)
	v_cndmask_b32_e32 v17, 0, v18, vcc_lo
	v_add_nc_u32_e32 v16, v16, v17
	ds_store_b32 v6, v16 offset:1632
.LBB29_10:
	s_or_b32 exec_lo, exec_lo, s0
	v_cmp_lt_u32_e32 vcc_lo, 31, v0
	v_mov_b32_e32 v0, 0
	v_mov_b32_e32 v6, 0
	s_waitcnt lgkmcnt(0)
	s_barrier
	buffer_gl0_inv
	s_and_saveexec_b32 s0, vcc_lo
	s_cbranch_execz .LBB29_12
; %bb.11:
	ds_load_b32 v6, v15 offset:1628
.LBB29_12:
	s_or_b32 exec_lo, exec_lo, s0
	v_add_nc_u32_e32 v15, -1, v14
	ds_load_b32 v0, v0 offset:1644
	s_lshl_b64 s[0:1], s[2:3], 2
	s_waitcnt lgkmcnt(1)
	v_add_nc_u32_e32 v4, v6, v4
	s_add_u32 s0, s6, s0
	v_cmp_gt_i32_e32 vcc_lo, 0, v15
	s_addc_u32 s1, s7, s1
	v_cndmask_b32_e32 v15, v15, v14, vcc_lo
	v_cmp_eq_u32_e32 vcc_lo, 0, v14
	s_delay_alu instid0(VALU_DEP_2) | instskip(SKIP_4) | instid1(VALU_DEP_2)
	v_lshlrev_b32_e32 v15, 2, v15
	ds_bpermute_b32 v4, v15, v4
	s_waitcnt lgkmcnt(0)
	v_cndmask_b32_e32 v4, v4, v6, vcc_lo
	v_and_b32_e32 v6, 0xffff, v11
	v_lshl_add_u32 v0, v0, 16, v4
	v_and_b32_e32 v4, 0xffff, v9
	s_delay_alu instid0(VALU_DEP_2) | instskip(NEXT) | instid1(VALU_DEP_1)
	v_add_nc_u32_e32 v1, v0, v1
	v_add_nc_u32_e32 v2, v1, v2
	s_delay_alu instid0(VALU_DEP_1)
	v_add_nc_u32_e32 v3, v2, v3
	ds_store_2addr_b32 v13, v0, v1 offset1:1
	ds_store_2addr_b32 v13, v2, v3 offset0:2 offset1:3
	s_waitcnt lgkmcnt(0)
	s_barrier
	buffer_gl0_inv
	ds_load_u16 v0, v8
	ds_load_u16 v1, v10
	;; [unrolled: 1-line block ×3, first 2 shown]
	v_and_b32_e32 v3, 0xffff, v7
	s_waitcnt lgkmcnt(2)
	s_delay_alu instid0(VALU_DEP_1)
	v_add_nc_u32_e32 v0, v0, v3
	s_waitcnt lgkmcnt(1)
	v_add_nc_u32_e32 v1, v1, v4
	s_waitcnt lgkmcnt(0)
	v_add_nc_u32_e32 v2, v2, v6
	v_lshlrev_b32_e32 v3, 2, v5
	global_store_b96 v3, v[0:2], s[0:1]
	s_nop 0
	s_sendmsg sendmsg(MSG_DEALLOC_VGPRS)
	s_endpgm
	.section	.rodata,"a",@progbits
	.p2align	6, 0x0
	.amdhsa_kernel _Z11rank_kernelILj102ELj3ELj3ELb1EL18RadixRankAlgorithm1EtEvPKT4_Pijj
		.amdhsa_group_segment_fixed_size 1648
		.amdhsa_private_segment_fixed_size 0
		.amdhsa_kernarg_size 24
		.amdhsa_user_sgpr_count 15
		.amdhsa_user_sgpr_dispatch_ptr 0
		.amdhsa_user_sgpr_queue_ptr 0
		.amdhsa_user_sgpr_kernarg_segment_ptr 1
		.amdhsa_user_sgpr_dispatch_id 0
		.amdhsa_user_sgpr_private_segment_size 0
		.amdhsa_wavefront_size32 1
		.amdhsa_uses_dynamic_stack 0
		.amdhsa_enable_private_segment 0
		.amdhsa_system_sgpr_workgroup_id_x 1
		.amdhsa_system_sgpr_workgroup_id_y 0
		.amdhsa_system_sgpr_workgroup_id_z 0
		.amdhsa_system_sgpr_workgroup_info 0
		.amdhsa_system_vgpr_workitem_id 0
		.amdhsa_next_free_vgpr 19
		.amdhsa_next_free_sgpr 16
		.amdhsa_reserve_vcc 1
		.amdhsa_float_round_mode_32 0
		.amdhsa_float_round_mode_16_64 0
		.amdhsa_float_denorm_mode_32 3
		.amdhsa_float_denorm_mode_16_64 3
		.amdhsa_dx10_clamp 1
		.amdhsa_ieee_mode 1
		.amdhsa_fp16_overflow 0
		.amdhsa_workgroup_processor_mode 1
		.amdhsa_memory_ordered 1
		.amdhsa_forward_progress 0
		.amdhsa_shared_vgpr_count 0
		.amdhsa_exception_fp_ieee_invalid_op 0
		.amdhsa_exception_fp_denorm_src 0
		.amdhsa_exception_fp_ieee_div_zero 0
		.amdhsa_exception_fp_ieee_overflow 0
		.amdhsa_exception_fp_ieee_underflow 0
		.amdhsa_exception_fp_ieee_inexact 0
		.amdhsa_exception_int_div_zero 0
	.end_amdhsa_kernel
	.section	.text._Z11rank_kernelILj102ELj3ELj3ELb1EL18RadixRankAlgorithm1EtEvPKT4_Pijj,"axG",@progbits,_Z11rank_kernelILj102ELj3ELj3ELb1EL18RadixRankAlgorithm1EtEvPKT4_Pijj,comdat
.Lfunc_end29:
	.size	_Z11rank_kernelILj102ELj3ELj3ELb1EL18RadixRankAlgorithm1EtEvPKT4_Pijj, .Lfunc_end29-_Z11rank_kernelILj102ELj3ELj3ELb1EL18RadixRankAlgorithm1EtEvPKT4_Pijj
                                        ; -- End function
	.section	.AMDGPU.csdata,"",@progbits
; Kernel info:
; codeLenInByte = 1192
; NumSgprs: 18
; NumVgprs: 19
; ScratchSize: 0
; MemoryBound: 0
; FloatMode: 240
; IeeeMode: 1
; LDSByteSize: 1648 bytes/workgroup (compile time only)
; SGPRBlocks: 2
; VGPRBlocks: 2
; NumSGPRsForWavesPerEU: 18
; NumVGPRsForWavesPerEU: 19
; Occupancy: 16
; WaveLimiterHint : 0
; COMPUTE_PGM_RSRC2:SCRATCH_EN: 0
; COMPUTE_PGM_RSRC2:USER_SGPR: 15
; COMPUTE_PGM_RSRC2:TRAP_HANDLER: 0
; COMPUTE_PGM_RSRC2:TGID_X_EN: 1
; COMPUTE_PGM_RSRC2:TGID_Y_EN: 0
; COMPUTE_PGM_RSRC2:TGID_Z_EN: 0
; COMPUTE_PGM_RSRC2:TIDIG_COMP_CNT: 0
	.section	.text._Z11rank_kernelILj64ELj1ELj5ELb0EL18RadixRankAlgorithm1EyEvPKT4_Pijj,"axG",@progbits,_Z11rank_kernelILj64ELj1ELj5ELb0EL18RadixRankAlgorithm1EyEvPKT4_Pijj,comdat
	.protected	_Z11rank_kernelILj64ELj1ELj5ELb0EL18RadixRankAlgorithm1EyEvPKT4_Pijj ; -- Begin function _Z11rank_kernelILj64ELj1ELj5ELb0EL18RadixRankAlgorithm1EyEvPKT4_Pijj
	.globl	_Z11rank_kernelILj64ELj1ELj5ELb0EL18RadixRankAlgorithm1EyEvPKT4_Pijj
	.p2align	8
	.type	_Z11rank_kernelILj64ELj1ELj5ELb0EL18RadixRankAlgorithm1EyEvPKT4_Pijj,@function
_Z11rank_kernelILj64ELj1ELj5ELb0EL18RadixRankAlgorithm1EyEvPKT4_Pijj: ; @_Z11rank_kernelILj64ELj1ELj5ELb0EL18RadixRankAlgorithm1EyEvPKT4_Pijj
; %bb.0:
	s_load_b128 s[4:7], s[0:1], 0x0
	s_lshl_b32 s2, s15, 6
	s_mov_b32 s3, 0
	v_lshlrev_b32_e32 v1, 3, v0
	s_lshl_b64 s[8:9], s[2:3], 3
	v_dual_mov_b32 v3, 0 :: v_dual_lshlrev_b32 v4, 2, v0
	v_or_b32_e32 v5, 0xffffffc0, v0
	s_waitcnt lgkmcnt(0)
	s_add_u32 s4, s4, s8
	s_addc_u32 s5, s5, s9
	global_load_b64 v[1:2], v1, s[4:5]
	s_mov_b32 s4, s3
.LBB30_1:                               ; =>This Inner Loop Header: Depth=1
	v_add_nc_u32_e32 v5, 64, v5
	ds_store_b32 v4, v3
	v_add_nc_u32_e32 v4, 0x100, v4
	v_cmp_lt_u32_e32 vcc_lo, 0x3bf, v5
	s_or_b32 s4, vcc_lo, s4
	s_delay_alu instid0(SALU_CYCLE_1)
	s_and_not1_b32 exec_lo, exec_lo, s4
	s_cbranch_execnz .LBB30_1
; %bb.2:
	s_or_b32 exec_lo, exec_lo, s4
	s_load_b64 s[0:1], s[0:1], 0x10
	v_mov_b32_e32 v3, 0
	s_waitcnt lgkmcnt(0)
	s_and_b32 s1, s1, 63
	s_delay_alu instid0(SALU_CYCLE_1)
	s_cmp_eq_u32 s1, 0
	s_cbranch_scc1 .LBB30_4
; %bb.3:
	s_and_b32 s0, s0, 63
	s_delay_alu instid0(SALU_CYCLE_1) | instskip(NEXT) | instid1(SALU_CYCLE_1)
	s_add_i32 s0, s0, s1
	s_sub_i32 s0, 64, s0
	s_waitcnt vmcnt(0)
	v_lshlrev_b64 v[1:2], s0, v[1:2]
	s_sub_i32 s0, 64, s1
	s_delay_alu instid0(VALU_DEP_1) | instid1(SALU_CYCLE_1)
	v_lshrrev_b64 v[3:4], s0, v[1:2]
.LBB30_4:
	s_waitcnt vmcnt(0)
	s_delay_alu instid0(VALU_DEP_1)
	v_lshlrev_b32_e32 v1, 6, v3
	v_lshrrev_b32_e32 v2, 4, v3
	v_lshlrev_b32_e32 v19, 6, v0
	v_or_b32_e32 v23, 31, v0
	s_mov_b32 s0, exec_lo
	v_and_or_b32 v1, 0x3c0, v1, v0
	s_delay_alu instid0(VALU_DEP_1) | instskip(NEXT) | instid1(VALU_DEP_1)
	v_lshlrev_b32_e32 v1, 1, v1
	v_add_lshl_u32 v17, v1, v2, 1
	ds_load_u16 v18, v17
	s_waitcnt lgkmcnt(0)
	v_add_nc_u16 v1, v18, 1
	ds_store_b16 v17, v1
	s_waitcnt lgkmcnt(0)
	s_barrier
	buffer_gl0_inv
	ds_load_2addr_b32 v[7:8], v19 offset1:1
	ds_load_2addr_b32 v[5:6], v19 offset0:2 offset1:3
	ds_load_2addr_b32 v[3:4], v19 offset0:4 offset1:5
	;; [unrolled: 1-line block ×4, first 2 shown]
	s_waitcnt lgkmcnt(4)
	v_add_nc_u32_e32 v11, v8, v7
	s_waitcnt lgkmcnt(3)
	s_delay_alu instid0(VALU_DEP_1)
	v_add3_u32 v13, v11, v5, v6
	ds_load_2addr_b32 v[11:12], v19 offset0:10 offset1:11
	s_waitcnt lgkmcnt(3)
	v_add3_u32 v20, v13, v3, v4
	ds_load_2addr_b32 v[13:14], v19 offset0:12 offset1:13
	ds_load_2addr_b32 v[15:16], v19 offset0:14 offset1:15
	s_waitcnt lgkmcnt(4)
	v_add3_u32 v20, v20, v1, v2
	s_waitcnt lgkmcnt(3)
	s_delay_alu instid0(VALU_DEP_1) | instskip(SKIP_1) | instid1(VALU_DEP_1)
	v_add3_u32 v20, v20, v9, v10
	s_waitcnt lgkmcnt(2)
	v_add3_u32 v20, v20, v11, v12
	s_waitcnt lgkmcnt(1)
	s_delay_alu instid0(VALU_DEP_1) | instskip(SKIP_2) | instid1(VALU_DEP_2)
	v_add3_u32 v21, v20, v13, v14
	v_mbcnt_lo_u32_b32 v20, -1, 0
	s_waitcnt lgkmcnt(0)
	v_add3_u32 v16, v21, v15, v16
	s_delay_alu instid0(VALU_DEP_2) | instskip(NEXT) | instid1(VALU_DEP_2)
	v_and_b32_e32 v21, 15, v20
	v_mov_b32_dpp v22, v16 row_shr:1 row_mask:0xf bank_mask:0xf
	s_delay_alu instid0(VALU_DEP_2) | instskip(NEXT) | instid1(VALU_DEP_2)
	v_cmp_ne_u32_e32 vcc_lo, 0, v21
	v_cndmask_b32_e32 v22, 0, v22, vcc_lo
	v_cmp_lt_u32_e32 vcc_lo, 1, v21
	s_delay_alu instid0(VALU_DEP_2) | instskip(NEXT) | instid1(VALU_DEP_1)
	v_add_nc_u32_e32 v16, v22, v16
	v_mov_b32_dpp v22, v16 row_shr:2 row_mask:0xf bank_mask:0xf
	s_delay_alu instid0(VALU_DEP_1) | instskip(SKIP_1) | instid1(VALU_DEP_2)
	v_cndmask_b32_e32 v22, 0, v22, vcc_lo
	v_cmp_lt_u32_e32 vcc_lo, 3, v21
	v_add_nc_u32_e32 v16, v16, v22
	s_delay_alu instid0(VALU_DEP_1) | instskip(NEXT) | instid1(VALU_DEP_1)
	v_mov_b32_dpp v22, v16 row_shr:4 row_mask:0xf bank_mask:0xf
	v_cndmask_b32_e32 v22, 0, v22, vcc_lo
	v_cmp_lt_u32_e32 vcc_lo, 7, v21
	s_delay_alu instid0(VALU_DEP_2) | instskip(NEXT) | instid1(VALU_DEP_1)
	v_add_nc_u32_e32 v16, v16, v22
	v_mov_b32_dpp v22, v16 row_shr:8 row_mask:0xf bank_mask:0xf
	s_delay_alu instid0(VALU_DEP_1) | instskip(SKIP_1) | instid1(VALU_DEP_2)
	v_cndmask_b32_e32 v21, 0, v22, vcc_lo
	v_bfe_i32 v22, v20, 4, 1
	v_add_nc_u32_e32 v16, v16, v21
	ds_swizzle_b32 v21, v16 offset:swizzle(BROADCAST,32,15)
	s_waitcnt lgkmcnt(0)
	v_and_b32_e32 v21, v22, v21
	v_lshrrev_b32_e32 v22, 5, v0
	s_delay_alu instid0(VALU_DEP_2) | instskip(NEXT) | instid1(VALU_DEP_2)
	v_add_nc_u32_e32 v21, v16, v21
	v_lshlrev_b32_e32 v22, 2, v22
	v_cmpx_eq_u32_e64 v23, v0
	s_cbranch_execz .LBB30_6
; %bb.5:
	ds_store_b32 v22, v21 offset:4096
.LBB30_6:
	s_or_b32 exec_lo, exec_lo, s0
	v_lshlrev_b32_e32 v16, 2, v0
	s_mov_b32 s0, exec_lo
	s_waitcnt lgkmcnt(0)
	s_barrier
	buffer_gl0_inv
	v_cmpx_gt_u32_e32 2, v0
	s_cbranch_execz .LBB30_8
; %bb.7:
	ds_load_b32 v23, v16 offset:4096
	v_bfe_i32 v24, v20, 0, 1
	s_waitcnt lgkmcnt(0)
	v_mov_b32_dpp v25, v23 row_shr:1 row_mask:0xf bank_mask:0xf
	s_delay_alu instid0(VALU_DEP_1) | instskip(NEXT) | instid1(VALU_DEP_1)
	v_and_b32_e32 v24, v24, v25
	v_add_nc_u32_e32 v23, v24, v23
	ds_store_b32 v16, v23 offset:4096
.LBB30_8:
	s_or_b32 exec_lo, exec_lo, s0
	v_cmp_lt_u32_e32 vcc_lo, 31, v0
	v_dual_mov_b32 v0, 0 :: v_dual_mov_b32 v23, 0
	s_waitcnt lgkmcnt(0)
	s_barrier
	buffer_gl0_inv
	s_and_saveexec_b32 s0, vcc_lo
	s_cbranch_execz .LBB30_10
; %bb.9:
	ds_load_b32 v23, v22 offset:4092
.LBB30_10:
	s_or_b32 exec_lo, exec_lo, s0
	v_add_nc_u32_e32 v22, -1, v20
	ds_load_b32 v0, v0 offset:4100
	s_lshl_b64 s[0:1], s[2:3], 2
	s_waitcnt lgkmcnt(1)
	v_add_nc_u32_e32 v21, v23, v21
	s_add_u32 s0, s6, s0
	v_cmp_gt_i32_e32 vcc_lo, 0, v22
	s_addc_u32 s1, s7, s1
	v_cndmask_b32_e32 v22, v22, v20, vcc_lo
	v_cmp_eq_u32_e32 vcc_lo, 0, v20
	s_delay_alu instid0(VALU_DEP_2) | instskip(SKIP_3) | instid1(VALU_DEP_1)
	v_lshlrev_b32_e32 v22, 2, v22
	ds_bpermute_b32 v21, v22, v21
	s_waitcnt lgkmcnt(0)
	v_cndmask_b32_e32 v20, v21, v23, vcc_lo
	v_lshl_add_u32 v0, v0, 16, v20
	s_delay_alu instid0(VALU_DEP_1) | instskip(NEXT) | instid1(VALU_DEP_1)
	v_add_nc_u32_e32 v7, v0, v7
	v_add_nc_u32_e32 v8, v7, v8
	s_delay_alu instid0(VALU_DEP_1) | instskip(NEXT) | instid1(VALU_DEP_1)
	v_add_nc_u32_e32 v5, v8, v5
	v_add_nc_u32_e32 v6, v5, v6
	;; [unrolled: 3-line block ×7, first 2 shown]
	s_delay_alu instid0(VALU_DEP_1)
	v_add_nc_u32_e32 v15, v14, v15
	ds_store_2addr_b32 v19, v0, v7 offset1:1
	ds_store_2addr_b32 v19, v8, v5 offset0:2 offset1:3
	ds_store_2addr_b32 v19, v6, v3 offset0:4 offset1:5
	;; [unrolled: 1-line block ×7, first 2 shown]
	s_waitcnt lgkmcnt(0)
	s_barrier
	buffer_gl0_inv
	ds_load_u16 v0, v17
	v_and_b32_e32 v1, 0xffff, v18
	s_waitcnt lgkmcnt(0)
	s_delay_alu instid0(VALU_DEP_1)
	v_add_nc_u32_e32 v0, v0, v1
	global_store_b32 v16, v0, s[0:1]
	s_nop 0
	s_sendmsg sendmsg(MSG_DEALLOC_VGPRS)
	s_endpgm
	.section	.rodata,"a",@progbits
	.p2align	6, 0x0
	.amdhsa_kernel _Z11rank_kernelILj64ELj1ELj5ELb0EL18RadixRankAlgorithm1EyEvPKT4_Pijj
		.amdhsa_group_segment_fixed_size 4112
		.amdhsa_private_segment_fixed_size 0
		.amdhsa_kernarg_size 24
		.amdhsa_user_sgpr_count 15
		.amdhsa_user_sgpr_dispatch_ptr 0
		.amdhsa_user_sgpr_queue_ptr 0
		.amdhsa_user_sgpr_kernarg_segment_ptr 1
		.amdhsa_user_sgpr_dispatch_id 0
		.amdhsa_user_sgpr_private_segment_size 0
		.amdhsa_wavefront_size32 1
		.amdhsa_uses_dynamic_stack 0
		.amdhsa_enable_private_segment 0
		.amdhsa_system_sgpr_workgroup_id_x 1
		.amdhsa_system_sgpr_workgroup_id_y 0
		.amdhsa_system_sgpr_workgroup_id_z 0
		.amdhsa_system_sgpr_workgroup_info 0
		.amdhsa_system_vgpr_workitem_id 0
		.amdhsa_next_free_vgpr 26
		.amdhsa_next_free_sgpr 16
		.amdhsa_reserve_vcc 1
		.amdhsa_float_round_mode_32 0
		.amdhsa_float_round_mode_16_64 0
		.amdhsa_float_denorm_mode_32 3
		.amdhsa_float_denorm_mode_16_64 3
		.amdhsa_dx10_clamp 1
		.amdhsa_ieee_mode 1
		.amdhsa_fp16_overflow 0
		.amdhsa_workgroup_processor_mode 1
		.amdhsa_memory_ordered 1
		.amdhsa_forward_progress 0
		.amdhsa_shared_vgpr_count 0
		.amdhsa_exception_fp_ieee_invalid_op 0
		.amdhsa_exception_fp_denorm_src 0
		.amdhsa_exception_fp_ieee_div_zero 0
		.amdhsa_exception_fp_ieee_overflow 0
		.amdhsa_exception_fp_ieee_underflow 0
		.amdhsa_exception_fp_ieee_inexact 0
		.amdhsa_exception_int_div_zero 0
	.end_amdhsa_kernel
	.section	.text._Z11rank_kernelILj64ELj1ELj5ELb0EL18RadixRankAlgorithm1EyEvPKT4_Pijj,"axG",@progbits,_Z11rank_kernelILj64ELj1ELj5ELb0EL18RadixRankAlgorithm1EyEvPKT4_Pijj,comdat
.Lfunc_end30:
	.size	_Z11rank_kernelILj64ELj1ELj5ELb0EL18RadixRankAlgorithm1EyEvPKT4_Pijj, .Lfunc_end30-_Z11rank_kernelILj64ELj1ELj5ELb0EL18RadixRankAlgorithm1EyEvPKT4_Pijj
                                        ; -- End function
	.section	.AMDGPU.csdata,"",@progbits
; Kernel info:
; codeLenInByte = 1068
; NumSgprs: 18
; NumVgprs: 26
; ScratchSize: 0
; MemoryBound: 0
; FloatMode: 240
; IeeeMode: 1
; LDSByteSize: 4112 bytes/workgroup (compile time only)
; SGPRBlocks: 2
; VGPRBlocks: 3
; NumSGPRsForWavesPerEU: 18
; NumVGPRsForWavesPerEU: 26
; Occupancy: 16
; WaveLimiterHint : 0
; COMPUTE_PGM_RSRC2:SCRATCH_EN: 0
; COMPUTE_PGM_RSRC2:USER_SGPR: 15
; COMPUTE_PGM_RSRC2:TRAP_HANDLER: 0
; COMPUTE_PGM_RSRC2:TGID_X_EN: 1
; COMPUTE_PGM_RSRC2:TGID_Y_EN: 0
; COMPUTE_PGM_RSRC2:TGID_Z_EN: 0
; COMPUTE_PGM_RSRC2:TIDIG_COMP_CNT: 0
	.section	.text._Z11rank_kernelILj234ELj9ELj4ELb0EL18RadixRankAlgorithm1E12hip_bfloat16EvPKT4_Pijj,"axG",@progbits,_Z11rank_kernelILj234ELj9ELj4ELb0EL18RadixRankAlgorithm1E12hip_bfloat16EvPKT4_Pijj,comdat
	.protected	_Z11rank_kernelILj234ELj9ELj4ELb0EL18RadixRankAlgorithm1E12hip_bfloat16EvPKT4_Pijj ; -- Begin function _Z11rank_kernelILj234ELj9ELj4ELb0EL18RadixRankAlgorithm1E12hip_bfloat16EvPKT4_Pijj
	.globl	_Z11rank_kernelILj234ELj9ELj4ELb0EL18RadixRankAlgorithm1E12hip_bfloat16EvPKT4_Pijj
	.p2align	8
	.type	_Z11rank_kernelILj234ELj9ELj4ELb0EL18RadixRankAlgorithm1E12hip_bfloat16EvPKT4_Pijj,@function
_Z11rank_kernelILj234ELj9ELj4ELb0EL18RadixRankAlgorithm1E12hip_bfloat16EvPKT4_Pijj: ; @_Z11rank_kernelILj234ELj9ELj4ELb0EL18RadixRankAlgorithm1E12hip_bfloat16EvPKT4_Pijj
; %bb.0:
	s_load_b128 s[4:7], s[0:1], 0x0
	v_mul_u32_u24_e32 v9, 9, v0
	s_mov_b32 s3, 0
	s_mul_i32 s2, s15, 0x83a
	v_lshlrev_b32_e32 v7, 2, v0
	s_lshl_b64 s[8:9], s[2:3], 1
	v_dual_mov_b32 v6, 0 :: v_dual_lshlrev_b32 v5, 1, v9
	v_add_nc_u32_e32 v8, 0xffffff16, v0
	s_waitcnt lgkmcnt(0)
	s_add_u32 s4, s4, s8
	s_addc_u32 s5, s5, s9
	s_clause 0x1
	global_load_b128 v[1:4], v5, s[4:5]
	global_load_u16 v5, v5, s[4:5] offset:16
	s_mov_b32 s4, s3
.LBB31_1:                               ; =>This Inner Loop Header: Depth=1
	v_add_nc_u32_e32 v8, 0xea, v8
	ds_store_b32 v7, v6
	v_add_nc_u32_e32 v7, 0x3a8, v7
	v_cmp_lt_u32_e32 vcc_lo, 0x665, v8
	s_or_b32 s4, vcc_lo, s4
	s_delay_alu instid0(SALU_CYCLE_1)
	s_and_not1_b32 exec_lo, exec_lo, s4
	s_cbranch_execnz .LBB31_1
; %bb.2:
	s_or_b32 exec_lo, exec_lo, s4
	s_load_b64 s[0:1], s[0:1], 0x10
	s_waitcnt vmcnt(1)
	v_cmp_lt_i16_e32 vcc_lo, -1, v1
	v_lshlrev_b32_e32 v28, 5, v0
	v_cndmask_b32_e64 v6, -1, 0xffff8000, vcc_lo
	s_delay_alu instid0(VALU_DEP_1) | instskip(SKIP_1) | instid1(VALU_DEP_2)
	v_xor_b32_e32 v6, v6, v1
	v_lshrrev_b32_e32 v1, 16, v1
	v_cmp_ne_u16_e32 vcc_lo, 0x7fff, v6
	s_waitcnt lgkmcnt(0)
	s_and_b32 s1, s1, 31
	v_cndmask_b32_e32 v6, 0xffff8000, v6, vcc_lo
	s_cmp_eq_u32 s1, 0
	v_cmp_lt_i16_e32 vcc_lo, -1, v1
	s_cselect_b32 s4, -1, 0
	s_and_b32 s0, s0, 31
	v_and_b32_e32 v6, 0xffff, v6
	s_add_i32 s0, s0, s1
	v_cndmask_b32_e64 v7, -1, 0xffff8000, vcc_lo
	s_sub_i32 s0, 32, s0
	s_sub_i32 s1, 32, s1
	v_lshlrev_b32_e32 v6, s0, v6
	s_delay_alu instid0(VALU_DEP_2) | instskip(NEXT) | instid1(VALU_DEP_2)
	v_xor_b32_e32 v1, v7, v1
	v_bfe_u32 v6, v6, s1, 16
	s_delay_alu instid0(VALU_DEP_2) | instskip(NEXT) | instid1(VALU_DEP_2)
	v_cmp_ne_u16_e32 vcc_lo, 0x7fff, v1
	v_cndmask_b32_e64 v6, v6, 0, s4
	v_cndmask_b32_e32 v1, 0xffff8000, v1, vcc_lo
	v_cmp_lt_i16_e32 vcc_lo, -1, v2
	s_delay_alu instid0(VALU_DEP_3) | instskip(SKIP_1) | instid1(VALU_DEP_4)
	v_and_b32_e32 v7, 7, v6
	v_lshrrev_b32_e32 v6, 3, v6
	v_and_b32_e32 v1, 0xffff, v1
	v_cndmask_b32_e64 v8, -1, 0xffff8000, vcc_lo
	s_delay_alu instid0(VALU_DEP_4) | instskip(NEXT) | instid1(VALU_DEP_3)
	v_mul_u32_u24_e32 v7, 0xea, v7
	v_lshlrev_b32_e32 v1, s0, v1
	s_delay_alu instid0(VALU_DEP_2) | instskip(NEXT) | instid1(VALU_DEP_2)
	v_add_lshl_u32 v7, v7, v0, 1
	v_bfe_u32 v1, v1, s1, 16
	s_delay_alu instid0(VALU_DEP_2) | instskip(SKIP_1) | instid1(VALU_DEP_3)
	v_add_lshl_u32 v10, v7, v6, 1
	v_xor_b32_e32 v6, v8, v2
	v_cndmask_b32_e64 v1, v1, 0, s4
	v_lshrrev_b32_e32 v2, 16, v2
	ds_load_u16 v11, v10
	v_cmp_ne_u16_e32 vcc_lo, 0x7fff, v6
	v_and_b32_e32 v7, 7, v1
	v_lshrrev_b32_e32 v1, 3, v1
	v_cndmask_b32_e32 v6, 0xffff8000, v6, vcc_lo
	s_delay_alu instid0(VALU_DEP_3) | instskip(SKIP_1) | instid1(VALU_DEP_3)
	v_mul_u32_u24_e32 v7, 0xea, v7
	v_cmp_lt_i16_e32 vcc_lo, -1, v2
	v_and_b32_e32 v6, 0xffff, v6
	s_delay_alu instid0(VALU_DEP_3) | instskip(SKIP_1) | instid1(VALU_DEP_3)
	v_add_lshl_u32 v7, v7, v0, 1
	v_cndmask_b32_e64 v8, -1, 0xffff8000, vcc_lo
	v_lshlrev_b32_e32 v6, s0, v6
	s_delay_alu instid0(VALU_DEP_3) | instskip(NEXT) | instid1(VALU_DEP_3)
	v_add_lshl_u32 v13, v7, v1, 1
	v_xor_b32_e32 v1, v8, v2
	s_waitcnt lgkmcnt(0)
	v_add_nc_u16 v12, v11, 1
	v_bfe_u32 v6, v6, s1, 16
	s_delay_alu instid0(VALU_DEP_3)
	v_cmp_ne_u16_e32 vcc_lo, 0x7fff, v1
	ds_store_b16 v10, v12
	v_cndmask_b32_e64 v2, v6, 0, s4
	ds_load_u16 v12, v13
	v_cndmask_b32_e32 v1, 0xffff8000, v1, vcc_lo
	v_cmp_lt_i16_e32 vcc_lo, -1, v3
	v_and_b32_e32 v6, 7, v2
	v_lshrrev_b32_e32 v2, 3, v2
	s_delay_alu instid0(VALU_DEP_4) | instskip(NEXT) | instid1(VALU_DEP_3)
	v_and_b32_e32 v1, 0xffff, v1
	v_mul_u32_u24_e32 v6, 0xea, v6
	s_delay_alu instid0(VALU_DEP_2) | instskip(NEXT) | instid1(VALU_DEP_2)
	v_lshlrev_b32_e32 v1, s0, v1
	v_add_lshl_u32 v6, v6, v0, 1
	s_delay_alu instid0(VALU_DEP_2) | instskip(NEXT) | instid1(VALU_DEP_2)
	v_bfe_u32 v1, v1, s1, 16
	v_add_lshl_u32 v15, v6, v2, 1
	s_waitcnt lgkmcnt(0)
	v_add_nc_u16 v2, v12, 1
	v_cndmask_b32_e64 v6, -1, 0xffff8000, vcc_lo
	v_cndmask_b32_e64 v1, v1, 0, s4
	ds_store_b16 v13, v2
	v_xor_b32_e32 v2, v6, v3
	ds_load_u16 v14, v15
	v_and_b32_e32 v6, 7, v1
	v_lshrrev_b32_e32 v3, 16, v3
	v_lshrrev_b32_e32 v1, 3, v1
	v_cmp_ne_u16_e32 vcc_lo, 0x7fff, v2
	s_delay_alu instid0(VALU_DEP_4) | instskip(SKIP_2) | instid1(VALU_DEP_3)
	v_mul_u32_u24_e32 v6, 0xea, v6
	v_cndmask_b32_e32 v2, 0xffff8000, v2, vcc_lo
	v_cmp_lt_i16_e32 vcc_lo, -1, v3
	v_add_lshl_u32 v6, v6, v0, 1
	s_delay_alu instid0(VALU_DEP_3) | instskip(SKIP_1) | instid1(VALU_DEP_3)
	v_and_b32_e32 v2, 0xffff, v2
	v_cndmask_b32_e64 v7, -1, 0xffff8000, vcc_lo
	v_add_lshl_u32 v17, v6, v1, 1
	s_delay_alu instid0(VALU_DEP_3) | instskip(SKIP_2) | instid1(VALU_DEP_2)
	v_lshlrev_b32_e32 v2, s0, v2
	s_waitcnt lgkmcnt(0)
	v_add_nc_u16 v8, v14, 1
	v_bfe_u32 v1, v2, s1, 16
	v_xor_b32_e32 v2, v7, v3
	ds_store_b16 v15, v8
	ds_load_u16 v16, v17
	v_cndmask_b32_e64 v1, v1, 0, s4
	v_cmp_ne_u16_e32 vcc_lo, 0x7fff, v2
	s_delay_alu instid0(VALU_DEP_2) | instskip(SKIP_2) | instid1(VALU_DEP_3)
	v_dual_cndmask_b32 v2, 0xffff8000, v2 :: v_dual_and_b32 v3, 7, v1
	v_cmp_lt_i16_e32 vcc_lo, -1, v4
	v_lshrrev_b32_e32 v1, 3, v1
	v_mul_u32_u24_e32 v3, 0xea, v3
	s_delay_alu instid0(VALU_DEP_4) | instskip(SKIP_1) | instid1(VALU_DEP_3)
	v_and_b32_e32 v2, 0xffff, v2
	v_cndmask_b32_e64 v6, -1, 0xffff8000, vcc_lo
	v_add_lshl_u32 v3, v3, v0, 1
	s_delay_alu instid0(VALU_DEP_3) | instskip(SKIP_2) | instid1(VALU_DEP_3)
	v_lshlrev_b32_e32 v2, s0, v2
	s_waitcnt lgkmcnt(0)
	v_add_nc_u16 v7, v16, 1
	v_add_lshl_u32 v19, v3, v1, 1
	s_delay_alu instid0(VALU_DEP_3)
	v_bfe_u32 v2, v2, s1, 16
	v_xor_b32_e32 v1, v6, v4
	ds_store_b16 v17, v7
	v_lshrrev_b32_e32 v4, 16, v4
	ds_load_u16 v18, v19
	v_cndmask_b32_e64 v2, v2, 0, s4
	v_cmp_ne_u16_e32 vcc_lo, 0x7fff, v1
	s_delay_alu instid0(VALU_DEP_2) | instskip(SKIP_3) | instid1(VALU_DEP_4)
	v_and_b32_e32 v3, 7, v2
	v_cndmask_b32_e32 v1, 0xffff8000, v1, vcc_lo
	v_cmp_lt_i16_e32 vcc_lo, -1, v4
	v_lshrrev_b32_e32 v2, 3, v2
	v_mul_u32_u24_e32 v3, 0xea, v3
	s_delay_alu instid0(VALU_DEP_4) | instskip(SKIP_1) | instid1(VALU_DEP_3)
	v_and_b32_e32 v1, 0xffff, v1
	v_cndmask_b32_e64 v6, -1, 0xffff8000, vcc_lo
	v_add_lshl_u32 v3, v3, v0, 1
	s_delay_alu instid0(VALU_DEP_3) | instskip(SKIP_2) | instid1(VALU_DEP_3)
	v_lshlrev_b32_e32 v1, s0, v1
	s_waitcnt lgkmcnt(0)
	v_add_nc_u16 v7, v18, 1
	v_add_lshl_u32 v21, v3, v2, 1
	s_delay_alu instid0(VALU_DEP_3)
	v_bfe_u32 v1, v1, s1, 16
	v_xor_b32_e32 v2, v6, v4
	ds_store_b16 v19, v7
	ds_load_u16 v20, v21
	v_cndmask_b32_e64 v1, v1, 0, s4
	v_cmp_ne_u16_e32 vcc_lo, 0x7fff, v2
	s_delay_alu instid0(VALU_DEP_2) | instskip(SKIP_3) | instid1(VALU_DEP_3)
	v_dual_cndmask_b32 v2, 0xffff8000, v2 :: v_dual_and_b32 v3, 7, v1
	v_lshrrev_b32_e32 v1, 3, v1
	s_waitcnt vmcnt(0)
	v_cmp_lt_i16_e32 vcc_lo, -1, v5
	v_mul_u32_u24_e32 v3, 0xea, v3
	v_and_b32_e32 v2, 0xffff, v2
	s_delay_alu instid0(VALU_DEP_2) | instskip(NEXT) | instid1(VALU_DEP_2)
	v_add_lshl_u32 v3, v3, v0, 1
	v_lshlrev_b32_e32 v2, s0, v2
	s_delay_alu instid0(VALU_DEP_2)
	v_add_lshl_u32 v23, v3, v1, 1
	s_waitcnt lgkmcnt(0)
	v_add_nc_u16 v1, v20, 1
	v_cndmask_b32_e64 v3, -1, 0xffff8000, vcc_lo
	v_bfe_u32 v2, v2, s1, 16
	ds_store_b16 v21, v1
	v_xor_b32_e32 v1, v3, v5
	ds_load_u16 v22, v23
	v_cndmask_b32_e64 v2, v2, 0, s4
	v_cmp_ne_u16_e32 vcc_lo, 0x7fff, v1
	s_delay_alu instid0(VALU_DEP_2) | instskip(SKIP_2) | instid1(VALU_DEP_3)
	v_and_b32_e32 v3, 7, v2
	v_lshrrev_b32_e32 v2, 3, v2
	v_cndmask_b32_e32 v1, 0xffff8000, v1, vcc_lo
	v_mul_u32_u24_e32 v3, 0xea, v3
	s_delay_alu instid0(VALU_DEP_2) | instskip(NEXT) | instid1(VALU_DEP_2)
	v_and_b32_e32 v1, 0xffff, v1
	v_add_lshl_u32 v3, v3, v0, 1
	s_delay_alu instid0(VALU_DEP_2) | instskip(SKIP_2) | instid1(VALU_DEP_3)
	v_lshlrev_b32_e32 v1, s0, v1
	s_waitcnt lgkmcnt(0)
	v_add_nc_u16 v4, v22, 1
	v_add_lshl_u32 v25, v3, v2, 1
	s_mov_b32 s0, exec_lo
	v_bfe_u32 v1, v1, s1, 16
	ds_store_b16 v23, v4
	ds_load_u16 v24, v25
	v_cndmask_b32_e64 v1, v1, 0, s4
	s_delay_alu instid0(VALU_DEP_1) | instskip(SKIP_1) | instid1(VALU_DEP_2)
	v_and_b32_e32 v2, 7, v1
	v_lshrrev_b32_e32 v1, 3, v1
	v_mul_u32_u24_e32 v2, 0xea, v2
	s_delay_alu instid0(VALU_DEP_1) | instskip(SKIP_2) | instid1(VALU_DEP_2)
	v_add_lshl_u32 v2, v2, v0, 1
	s_waitcnt lgkmcnt(0)
	v_add_nc_u16 v3, v24, 1
	v_add_lshl_u32 v27, v2, v1, 1
	ds_store_b16 v25, v3
	ds_load_u16 v26, v27
	s_waitcnt lgkmcnt(0)
	v_add_nc_u16 v1, v26, 1
	ds_store_b16 v27, v1
	s_waitcnt lgkmcnt(0)
	s_barrier
	buffer_gl0_inv
	ds_load_2addr_b32 v[7:8], v28 offset1:1
	ds_load_2addr_b32 v[5:6], v28 offset0:2 offset1:3
	ds_load_2addr_b32 v[1:2], v28 offset0:4 offset1:5
	;; [unrolled: 1-line block ×3, first 2 shown]
	s_waitcnt lgkmcnt(3)
	v_add_nc_u32_e32 v29, v8, v7
	s_waitcnt lgkmcnt(2)
	s_delay_alu instid0(VALU_DEP_1) | instskip(SKIP_1) | instid1(VALU_DEP_1)
	v_add3_u32 v29, v29, v5, v6
	s_waitcnt lgkmcnt(1)
	v_add3_u32 v30, v29, v1, v2
	v_mbcnt_lo_u32_b32 v29, -1, 0
	s_waitcnt lgkmcnt(0)
	s_delay_alu instid0(VALU_DEP_2) | instskip(NEXT) | instid1(VALU_DEP_2)
	v_add3_u32 v4, v30, v3, v4
	v_and_b32_e32 v30, 15, v29
	v_bfe_i32 v32, v29, 4, 1
	s_delay_alu instid0(VALU_DEP_3) | instskip(NEXT) | instid1(VALU_DEP_3)
	v_mov_b32_dpp v31, v4 row_shr:1 row_mask:0xf bank_mask:0xf
	v_cmp_ne_u32_e32 vcc_lo, 0, v30
	s_delay_alu instid0(VALU_DEP_2) | instskip(SKIP_1) | instid1(VALU_DEP_2)
	v_cndmask_b32_e32 v31, 0, v31, vcc_lo
	v_cmp_lt_u32_e32 vcc_lo, 1, v30
	v_add_nc_u32_e32 v4, v31, v4
	s_delay_alu instid0(VALU_DEP_1) | instskip(NEXT) | instid1(VALU_DEP_1)
	v_mov_b32_dpp v31, v4 row_shr:2 row_mask:0xf bank_mask:0xf
	v_cndmask_b32_e32 v31, 0, v31, vcc_lo
	v_cmp_lt_u32_e32 vcc_lo, 3, v30
	s_delay_alu instid0(VALU_DEP_2) | instskip(NEXT) | instid1(VALU_DEP_1)
	v_add_nc_u32_e32 v4, v4, v31
	v_mov_b32_dpp v31, v4 row_shr:4 row_mask:0xf bank_mask:0xf
	s_delay_alu instid0(VALU_DEP_1) | instskip(SKIP_1) | instid1(VALU_DEP_2)
	v_cndmask_b32_e32 v31, 0, v31, vcc_lo
	v_cmp_lt_u32_e32 vcc_lo, 7, v30
	v_add_nc_u32_e32 v4, v4, v31
	s_delay_alu instid0(VALU_DEP_1) | instskip(NEXT) | instid1(VALU_DEP_1)
	v_mov_b32_dpp v31, v4 row_shr:8 row_mask:0xf bank_mask:0xf
	v_dual_cndmask_b32 v30, 0, v31 :: v_dual_and_b32 v31, 0xe0, v0
	s_delay_alu instid0(VALU_DEP_1) | instskip(NEXT) | instid1(VALU_DEP_2)
	v_add_nc_u32_e32 v4, v4, v30
	v_min_u32_e32 v31, 0xca, v31
	ds_swizzle_b32 v30, v4 offset:swizzle(BROADCAST,32,15)
	v_add_nc_u32_e32 v31, 31, v31
	s_waitcnt lgkmcnt(0)
	v_and_b32_e32 v30, v32, v30
	v_lshrrev_b32_e32 v32, 5, v0
	s_delay_alu instid0(VALU_DEP_2) | instskip(NEXT) | instid1(VALU_DEP_2)
	v_add_nc_u32_e32 v4, v4, v30
	v_lshlrev_b32_e32 v30, 2, v32
	v_cmpx_eq_u32_e64 v31, v0
	s_cbranch_execz .LBB31_4
; %bb.3:
	ds_store_b32 v30, v4 offset:7488
.LBB31_4:
	s_or_b32 exec_lo, exec_lo, s0
	s_delay_alu instid0(SALU_CYCLE_1)
	s_mov_b32 s0, exec_lo
	s_waitcnt lgkmcnt(0)
	s_barrier
	buffer_gl0_inv
	v_cmpx_gt_u32_e32 8, v0
	s_cbranch_execz .LBB31_6
; %bb.5:
	v_and_b32_e32 v33, 7, v29
	s_delay_alu instid0(VALU_DEP_1) | instskip(SKIP_4) | instid1(VALU_DEP_1)
	v_cmp_ne_u32_e32 vcc_lo, 0, v33
	v_lshlrev_b32_e32 v31, 2, v0
	ds_load_b32 v32, v31 offset:7488
	s_waitcnt lgkmcnt(0)
	v_mov_b32_dpp v34, v32 row_shr:1 row_mask:0xf bank_mask:0xf
	v_cndmask_b32_e32 v34, 0, v34, vcc_lo
	v_cmp_lt_u32_e32 vcc_lo, 1, v33
	s_delay_alu instid0(VALU_DEP_2) | instskip(NEXT) | instid1(VALU_DEP_1)
	v_add_nc_u32_e32 v32, v34, v32
	v_mov_b32_dpp v34, v32 row_shr:2 row_mask:0xf bank_mask:0xf
	s_delay_alu instid0(VALU_DEP_1) | instskip(SKIP_1) | instid1(VALU_DEP_2)
	v_cndmask_b32_e32 v34, 0, v34, vcc_lo
	v_cmp_lt_u32_e32 vcc_lo, 3, v33
	v_add_nc_u32_e32 v32, v32, v34
	s_delay_alu instid0(VALU_DEP_1) | instskip(NEXT) | instid1(VALU_DEP_1)
	v_mov_b32_dpp v34, v32 row_shr:4 row_mask:0xf bank_mask:0xf
	v_cndmask_b32_e32 v33, 0, v34, vcc_lo
	s_delay_alu instid0(VALU_DEP_1)
	v_add_nc_u32_e32 v32, v32, v33
	ds_store_b32 v31, v32 offset:7488
.LBB31_6:
	s_or_b32 exec_lo, exec_lo, s0
	v_cmp_lt_u32_e32 vcc_lo, 31, v0
	v_dual_mov_b32 v0, 0 :: v_dual_mov_b32 v31, 0
	s_waitcnt lgkmcnt(0)
	s_barrier
	buffer_gl0_inv
	s_and_saveexec_b32 s0, vcc_lo
	s_cbranch_execz .LBB31_8
; %bb.7:
	ds_load_b32 v31, v30 offset:7484
.LBB31_8:
	s_or_b32 exec_lo, exec_lo, s0
	v_add_nc_u32_e32 v30, -1, v29
	s_waitcnt lgkmcnt(0)
	v_add_nc_u32_e32 v4, v31, v4
	ds_load_b32 v0, v0 offset:7516
	s_lshl_b64 s[0:1], s[2:3], 2
	v_lshlrev_b32_e32 v9, 2, v9
	v_cmp_gt_i32_e32 vcc_lo, 0, v30
	s_add_u32 s0, s6, s0
	s_addc_u32 s1, s7, s1
	v_cndmask_b32_e32 v30, v30, v29, vcc_lo
	v_cmp_eq_u32_e32 vcc_lo, 0, v29
	s_delay_alu instid0(VALU_DEP_2) | instskip(SKIP_3) | instid1(VALU_DEP_1)
	v_lshlrev_b32_e32 v30, 2, v30
	ds_bpermute_b32 v4, v30, v4
	s_waitcnt lgkmcnt(0)
	v_cndmask_b32_e32 v4, v4, v31, vcc_lo
	v_lshl_add_u32 v0, v0, 16, v4
	s_delay_alu instid0(VALU_DEP_1) | instskip(NEXT) | instid1(VALU_DEP_1)
	v_add_nc_u32_e32 v4, v0, v7
	v_add_nc_u32_e32 v7, v4, v8
	v_and_b32_e32 v8, 0xffff, v11
	v_and_b32_e32 v11, 0xffff, v12
	;; [unrolled: 1-line block ×4, first 2 shown]
	v_add_nc_u32_e32 v5, v7, v5
	v_and_b32_e32 v18, 0xffff, v26
	s_delay_alu instid0(VALU_DEP_2) | instskip(NEXT) | instid1(VALU_DEP_1)
	v_add_nc_u32_e32 v6, v5, v6
	v_add_nc_u32_e32 v1, v6, v1
	s_delay_alu instid0(VALU_DEP_1) | instskip(NEXT) | instid1(VALU_DEP_1)
	v_add_nc_u32_e32 v2, v1, v2
	v_add_nc_u32_e32 v3, v2, v3
	ds_store_2addr_b32 v28, v0, v4 offset1:1
	ds_store_2addr_b32 v28, v7, v5 offset0:2 offset1:3
	ds_store_2addr_b32 v28, v6, v1 offset0:4 offset1:5
	;; [unrolled: 1-line block ×3, first 2 shown]
	s_waitcnt lgkmcnt(0)
	s_barrier
	buffer_gl0_inv
	ds_load_u16 v0, v10
	ds_load_u16 v1, v13
	;; [unrolled: 1-line block ×9, first 2 shown]
	v_and_b32_e32 v13, 0xffff, v16
	v_and_b32_e32 v15, 0xffff, v20
	;; [unrolled: 1-line block ×4, first 2 shown]
	s_waitcnt lgkmcnt(8)
	v_add_nc_u32_e32 v0, v0, v8
	s_waitcnt lgkmcnt(7)
	v_add_nc_u32_e32 v1, v1, v11
	s_waitcnt lgkmcnt(6)
	v_add_nc_u32_e32 v2, v2, v12
	s_waitcnt lgkmcnt(5)
	v_add_nc_u32_e32 v3, v3, v13
	s_waitcnt lgkmcnt(4)
	v_add_nc_u32_e32 v4, v4, v14
	s_waitcnt lgkmcnt(3)
	v_add_nc_u32_e32 v5, v5, v15
	s_waitcnt lgkmcnt(2)
	v_add_nc_u32_e32 v6, v6, v16
	s_waitcnt lgkmcnt(1)
	v_add_nc_u32_e32 v7, v7, v17
	s_waitcnt lgkmcnt(0)
	v_add_nc_u32_e32 v8, v10, v18
	s_clause 0x2
	global_store_b128 v9, v[0:3], s[0:1]
	global_store_b128 v9, v[4:7], s[0:1] offset:16
	global_store_b32 v9, v8, s[0:1] offset:32
	s_nop 0
	s_sendmsg sendmsg(MSG_DEALLOC_VGPRS)
	s_endpgm
	.section	.rodata,"a",@progbits
	.p2align	6, 0x0
	.amdhsa_kernel _Z11rank_kernelILj234ELj9ELj4ELb0EL18RadixRankAlgorithm1E12hip_bfloat16EvPKT4_Pijj
		.amdhsa_group_segment_fixed_size 8432
		.amdhsa_private_segment_fixed_size 0
		.amdhsa_kernarg_size 24
		.amdhsa_user_sgpr_count 15
		.amdhsa_user_sgpr_dispatch_ptr 0
		.amdhsa_user_sgpr_queue_ptr 0
		.amdhsa_user_sgpr_kernarg_segment_ptr 1
		.amdhsa_user_sgpr_dispatch_id 0
		.amdhsa_user_sgpr_private_segment_size 0
		.amdhsa_wavefront_size32 1
		.amdhsa_uses_dynamic_stack 0
		.amdhsa_enable_private_segment 0
		.amdhsa_system_sgpr_workgroup_id_x 1
		.amdhsa_system_sgpr_workgroup_id_y 0
		.amdhsa_system_sgpr_workgroup_id_z 0
		.amdhsa_system_sgpr_workgroup_info 0
		.amdhsa_system_vgpr_workitem_id 0
		.amdhsa_next_free_vgpr 35
		.amdhsa_next_free_sgpr 16
		.amdhsa_reserve_vcc 1
		.amdhsa_float_round_mode_32 0
		.amdhsa_float_round_mode_16_64 0
		.amdhsa_float_denorm_mode_32 3
		.amdhsa_float_denorm_mode_16_64 3
		.amdhsa_dx10_clamp 1
		.amdhsa_ieee_mode 1
		.amdhsa_fp16_overflow 0
		.amdhsa_workgroup_processor_mode 1
		.amdhsa_memory_ordered 1
		.amdhsa_forward_progress 0
		.amdhsa_shared_vgpr_count 0
		.amdhsa_exception_fp_ieee_invalid_op 0
		.amdhsa_exception_fp_denorm_src 0
		.amdhsa_exception_fp_ieee_div_zero 0
		.amdhsa_exception_fp_ieee_overflow 0
		.amdhsa_exception_fp_ieee_underflow 0
		.amdhsa_exception_fp_ieee_inexact 0
		.amdhsa_exception_int_div_zero 0
	.end_amdhsa_kernel
	.section	.text._Z11rank_kernelILj234ELj9ELj4ELb0EL18RadixRankAlgorithm1E12hip_bfloat16EvPKT4_Pijj,"axG",@progbits,_Z11rank_kernelILj234ELj9ELj4ELb0EL18RadixRankAlgorithm1E12hip_bfloat16EvPKT4_Pijj,comdat
.Lfunc_end31:
	.size	_Z11rank_kernelILj234ELj9ELj4ELb0EL18RadixRankAlgorithm1E12hip_bfloat16EvPKT4_Pijj, .Lfunc_end31-_Z11rank_kernelILj234ELj9ELj4ELb0EL18RadixRankAlgorithm1E12hip_bfloat16EvPKT4_Pijj
                                        ; -- End function
	.section	.AMDGPU.csdata,"",@progbits
; Kernel info:
; codeLenInByte = 2376
; NumSgprs: 18
; NumVgprs: 35
; ScratchSize: 0
; MemoryBound: 0
; FloatMode: 240
; IeeeMode: 1
; LDSByteSize: 8432 bytes/workgroup (compile time only)
; SGPRBlocks: 2
; VGPRBlocks: 4
; NumSGPRsForWavesPerEU: 18
; NumVGPRsForWavesPerEU: 35
; Occupancy: 16
; WaveLimiterHint : 0
; COMPUTE_PGM_RSRC2:SCRATCH_EN: 0
; COMPUTE_PGM_RSRC2:USER_SGPR: 15
; COMPUTE_PGM_RSRC2:TRAP_HANDLER: 0
; COMPUTE_PGM_RSRC2:TGID_X_EN: 1
; COMPUTE_PGM_RSRC2:TGID_Y_EN: 0
; COMPUTE_PGM_RSRC2:TGID_Z_EN: 0
; COMPUTE_PGM_RSRC2:TIDIG_COMP_CNT: 0
	.section	.text._Z11rank_kernelILj234ELj9ELj4ELb0EL18RadixRankAlgorithm1E6__halfEvPKT4_Pijj,"axG",@progbits,_Z11rank_kernelILj234ELj9ELj4ELb0EL18RadixRankAlgorithm1E6__halfEvPKT4_Pijj,comdat
	.protected	_Z11rank_kernelILj234ELj9ELj4ELb0EL18RadixRankAlgorithm1E6__halfEvPKT4_Pijj ; -- Begin function _Z11rank_kernelILj234ELj9ELj4ELb0EL18RadixRankAlgorithm1E6__halfEvPKT4_Pijj
	.globl	_Z11rank_kernelILj234ELj9ELj4ELb0EL18RadixRankAlgorithm1E6__halfEvPKT4_Pijj
	.p2align	8
	.type	_Z11rank_kernelILj234ELj9ELj4ELb0EL18RadixRankAlgorithm1E6__halfEvPKT4_Pijj,@function
_Z11rank_kernelILj234ELj9ELj4ELb0EL18RadixRankAlgorithm1E6__halfEvPKT4_Pijj: ; @_Z11rank_kernelILj234ELj9ELj4ELb0EL18RadixRankAlgorithm1E6__halfEvPKT4_Pijj
; %bb.0:
	s_load_b128 s[4:7], s[0:1], 0x0
	v_mul_u32_u24_e32 v9, 9, v0
	s_mov_b32 s3, 0
	s_mul_i32 s2, s15, 0x83a
	v_lshlrev_b32_e32 v7, 2, v0
	s_lshl_b64 s[8:9], s[2:3], 1
	v_dual_mov_b32 v6, 0 :: v_dual_lshlrev_b32 v5, 1, v9
	v_add_nc_u32_e32 v8, 0xffffff16, v0
	s_waitcnt lgkmcnt(0)
	s_add_u32 s4, s4, s8
	s_addc_u32 s5, s5, s9
	s_clause 0x1
	global_load_b128 v[1:4], v5, s[4:5]
	global_load_u16 v5, v5, s[4:5] offset:16
	s_mov_b32 s4, s3
.LBB32_1:                               ; =>This Inner Loop Header: Depth=1
	v_add_nc_u32_e32 v8, 0xea, v8
	ds_store_b32 v7, v6
	v_add_nc_u32_e32 v7, 0x3a8, v7
	v_cmp_lt_u32_e32 vcc_lo, 0x665, v8
	s_or_b32 s4, vcc_lo, s4
	s_delay_alu instid0(SALU_CYCLE_1)
	s_and_not1_b32 exec_lo, exec_lo, s4
	s_cbranch_execnz .LBB32_1
; %bb.2:
	s_or_b32 exec_lo, exec_lo, s4
	s_load_b64 s[0:1], s[0:1], 0x10
	s_waitcnt vmcnt(1)
	v_cmp_lt_i16_e32 vcc_lo, -1, v1
	v_lshlrev_b32_e32 v28, 5, v0
	v_cndmask_b32_e64 v6, -1, 0xffff8000, vcc_lo
	s_delay_alu instid0(VALU_DEP_1) | instskip(SKIP_1) | instid1(VALU_DEP_2)
	v_xor_b32_e32 v6, v6, v1
	v_lshrrev_b32_e32 v1, 16, v1
	v_cmp_ne_u16_e32 vcc_lo, 0x7fff, v6
	s_waitcnt lgkmcnt(0)
	s_and_b32 s1, s1, 31
	v_cndmask_b32_e32 v6, 0xffff8000, v6, vcc_lo
	s_cmp_eq_u32 s1, 0
	v_cmp_lt_i16_e32 vcc_lo, -1, v1
	s_cselect_b32 s4, -1, 0
	s_and_b32 s0, s0, 31
	v_and_b32_e32 v6, 0xffff, v6
	s_add_i32 s0, s0, s1
	v_cndmask_b32_e64 v7, -1, 0xffff8000, vcc_lo
	s_sub_i32 s0, 32, s0
	s_sub_i32 s1, 32, s1
	v_lshlrev_b32_e32 v6, s0, v6
	s_delay_alu instid0(VALU_DEP_2) | instskip(NEXT) | instid1(VALU_DEP_2)
	v_xor_b32_e32 v1, v7, v1
	v_bfe_u32 v6, v6, s1, 16
	s_delay_alu instid0(VALU_DEP_2) | instskip(NEXT) | instid1(VALU_DEP_2)
	v_cmp_ne_u16_e32 vcc_lo, 0x7fff, v1
	v_cndmask_b32_e64 v6, v6, 0, s4
	v_cndmask_b32_e32 v1, 0xffff8000, v1, vcc_lo
	v_cmp_lt_i16_e32 vcc_lo, -1, v2
	s_delay_alu instid0(VALU_DEP_3) | instskip(SKIP_1) | instid1(VALU_DEP_4)
	v_and_b32_e32 v7, 7, v6
	v_lshrrev_b32_e32 v6, 3, v6
	v_and_b32_e32 v1, 0xffff, v1
	v_cndmask_b32_e64 v8, -1, 0xffff8000, vcc_lo
	s_delay_alu instid0(VALU_DEP_4) | instskip(NEXT) | instid1(VALU_DEP_3)
	v_mul_u32_u24_e32 v7, 0xea, v7
	v_lshlrev_b32_e32 v1, s0, v1
	s_delay_alu instid0(VALU_DEP_2) | instskip(NEXT) | instid1(VALU_DEP_2)
	v_add_lshl_u32 v7, v7, v0, 1
	v_bfe_u32 v1, v1, s1, 16
	s_delay_alu instid0(VALU_DEP_2) | instskip(SKIP_1) | instid1(VALU_DEP_3)
	v_add_lshl_u32 v10, v7, v6, 1
	v_xor_b32_e32 v6, v8, v2
	v_cndmask_b32_e64 v1, v1, 0, s4
	v_lshrrev_b32_e32 v2, 16, v2
	ds_load_u16 v11, v10
	v_cmp_ne_u16_e32 vcc_lo, 0x7fff, v6
	v_and_b32_e32 v7, 7, v1
	v_lshrrev_b32_e32 v1, 3, v1
	v_cndmask_b32_e32 v6, 0xffff8000, v6, vcc_lo
	s_delay_alu instid0(VALU_DEP_3) | instskip(SKIP_1) | instid1(VALU_DEP_3)
	v_mul_u32_u24_e32 v7, 0xea, v7
	v_cmp_lt_i16_e32 vcc_lo, -1, v2
	v_and_b32_e32 v6, 0xffff, v6
	s_delay_alu instid0(VALU_DEP_3) | instskip(SKIP_1) | instid1(VALU_DEP_3)
	v_add_lshl_u32 v7, v7, v0, 1
	v_cndmask_b32_e64 v8, -1, 0xffff8000, vcc_lo
	v_lshlrev_b32_e32 v6, s0, v6
	s_delay_alu instid0(VALU_DEP_3) | instskip(NEXT) | instid1(VALU_DEP_3)
	v_add_lshl_u32 v13, v7, v1, 1
	v_xor_b32_e32 v1, v8, v2
	s_waitcnt lgkmcnt(0)
	v_add_nc_u16 v12, v11, 1
	v_bfe_u32 v6, v6, s1, 16
	s_delay_alu instid0(VALU_DEP_3)
	v_cmp_ne_u16_e32 vcc_lo, 0x7fff, v1
	ds_store_b16 v10, v12
	v_cndmask_b32_e64 v2, v6, 0, s4
	ds_load_u16 v12, v13
	v_cndmask_b32_e32 v1, 0xffff8000, v1, vcc_lo
	v_cmp_lt_i16_e32 vcc_lo, -1, v3
	v_and_b32_e32 v6, 7, v2
	v_lshrrev_b32_e32 v2, 3, v2
	s_delay_alu instid0(VALU_DEP_4) | instskip(NEXT) | instid1(VALU_DEP_3)
	v_and_b32_e32 v1, 0xffff, v1
	v_mul_u32_u24_e32 v6, 0xea, v6
	s_delay_alu instid0(VALU_DEP_2) | instskip(NEXT) | instid1(VALU_DEP_2)
	v_lshlrev_b32_e32 v1, s0, v1
	v_add_lshl_u32 v6, v6, v0, 1
	s_delay_alu instid0(VALU_DEP_2) | instskip(NEXT) | instid1(VALU_DEP_2)
	v_bfe_u32 v1, v1, s1, 16
	v_add_lshl_u32 v15, v6, v2, 1
	s_waitcnt lgkmcnt(0)
	v_add_nc_u16 v2, v12, 1
	v_cndmask_b32_e64 v6, -1, 0xffff8000, vcc_lo
	v_cndmask_b32_e64 v1, v1, 0, s4
	ds_store_b16 v13, v2
	v_xor_b32_e32 v2, v6, v3
	ds_load_u16 v14, v15
	v_and_b32_e32 v6, 7, v1
	v_lshrrev_b32_e32 v3, 16, v3
	v_lshrrev_b32_e32 v1, 3, v1
	v_cmp_ne_u16_e32 vcc_lo, 0x7fff, v2
	s_delay_alu instid0(VALU_DEP_4) | instskip(SKIP_2) | instid1(VALU_DEP_3)
	v_mul_u32_u24_e32 v6, 0xea, v6
	v_cndmask_b32_e32 v2, 0xffff8000, v2, vcc_lo
	v_cmp_lt_i16_e32 vcc_lo, -1, v3
	v_add_lshl_u32 v6, v6, v0, 1
	s_delay_alu instid0(VALU_DEP_3) | instskip(SKIP_1) | instid1(VALU_DEP_3)
	v_and_b32_e32 v2, 0xffff, v2
	v_cndmask_b32_e64 v7, -1, 0xffff8000, vcc_lo
	v_add_lshl_u32 v17, v6, v1, 1
	s_delay_alu instid0(VALU_DEP_3) | instskip(SKIP_2) | instid1(VALU_DEP_2)
	v_lshlrev_b32_e32 v2, s0, v2
	s_waitcnt lgkmcnt(0)
	v_add_nc_u16 v8, v14, 1
	v_bfe_u32 v1, v2, s1, 16
	v_xor_b32_e32 v2, v7, v3
	ds_store_b16 v15, v8
	ds_load_u16 v16, v17
	v_cndmask_b32_e64 v1, v1, 0, s4
	v_cmp_ne_u16_e32 vcc_lo, 0x7fff, v2
	s_delay_alu instid0(VALU_DEP_2) | instskip(SKIP_2) | instid1(VALU_DEP_3)
	v_dual_cndmask_b32 v2, 0xffff8000, v2 :: v_dual_and_b32 v3, 7, v1
	v_cmp_lt_i16_e32 vcc_lo, -1, v4
	v_lshrrev_b32_e32 v1, 3, v1
	v_mul_u32_u24_e32 v3, 0xea, v3
	s_delay_alu instid0(VALU_DEP_4) | instskip(SKIP_1) | instid1(VALU_DEP_3)
	v_and_b32_e32 v2, 0xffff, v2
	v_cndmask_b32_e64 v6, -1, 0xffff8000, vcc_lo
	v_add_lshl_u32 v3, v3, v0, 1
	s_delay_alu instid0(VALU_DEP_3) | instskip(SKIP_2) | instid1(VALU_DEP_3)
	v_lshlrev_b32_e32 v2, s0, v2
	s_waitcnt lgkmcnt(0)
	v_add_nc_u16 v7, v16, 1
	v_add_lshl_u32 v19, v3, v1, 1
	s_delay_alu instid0(VALU_DEP_3)
	v_bfe_u32 v2, v2, s1, 16
	v_xor_b32_e32 v1, v6, v4
	ds_store_b16 v17, v7
	v_lshrrev_b32_e32 v4, 16, v4
	ds_load_u16 v18, v19
	v_cndmask_b32_e64 v2, v2, 0, s4
	v_cmp_ne_u16_e32 vcc_lo, 0x7fff, v1
	s_delay_alu instid0(VALU_DEP_2) | instskip(SKIP_3) | instid1(VALU_DEP_4)
	v_and_b32_e32 v3, 7, v2
	v_cndmask_b32_e32 v1, 0xffff8000, v1, vcc_lo
	v_cmp_lt_i16_e32 vcc_lo, -1, v4
	v_lshrrev_b32_e32 v2, 3, v2
	v_mul_u32_u24_e32 v3, 0xea, v3
	s_delay_alu instid0(VALU_DEP_4) | instskip(SKIP_1) | instid1(VALU_DEP_3)
	v_and_b32_e32 v1, 0xffff, v1
	v_cndmask_b32_e64 v6, -1, 0xffff8000, vcc_lo
	v_add_lshl_u32 v3, v3, v0, 1
	s_delay_alu instid0(VALU_DEP_3) | instskip(SKIP_2) | instid1(VALU_DEP_3)
	v_lshlrev_b32_e32 v1, s0, v1
	s_waitcnt lgkmcnt(0)
	v_add_nc_u16 v7, v18, 1
	v_add_lshl_u32 v21, v3, v2, 1
	s_delay_alu instid0(VALU_DEP_3)
	v_bfe_u32 v1, v1, s1, 16
	v_xor_b32_e32 v2, v6, v4
	ds_store_b16 v19, v7
	ds_load_u16 v20, v21
	v_cndmask_b32_e64 v1, v1, 0, s4
	v_cmp_ne_u16_e32 vcc_lo, 0x7fff, v2
	s_delay_alu instid0(VALU_DEP_2) | instskip(SKIP_3) | instid1(VALU_DEP_3)
	v_dual_cndmask_b32 v2, 0xffff8000, v2 :: v_dual_and_b32 v3, 7, v1
	v_lshrrev_b32_e32 v1, 3, v1
	s_waitcnt vmcnt(0)
	v_cmp_lt_i16_e32 vcc_lo, -1, v5
	v_mul_u32_u24_e32 v3, 0xea, v3
	v_and_b32_e32 v2, 0xffff, v2
	s_delay_alu instid0(VALU_DEP_2) | instskip(NEXT) | instid1(VALU_DEP_2)
	v_add_lshl_u32 v3, v3, v0, 1
	v_lshlrev_b32_e32 v2, s0, v2
	s_delay_alu instid0(VALU_DEP_2)
	v_add_lshl_u32 v23, v3, v1, 1
	s_waitcnt lgkmcnt(0)
	v_add_nc_u16 v1, v20, 1
	v_cndmask_b32_e64 v3, -1, 0xffff8000, vcc_lo
	v_bfe_u32 v2, v2, s1, 16
	ds_store_b16 v21, v1
	v_xor_b32_e32 v1, v3, v5
	ds_load_u16 v22, v23
	v_cndmask_b32_e64 v2, v2, 0, s4
	v_cmp_ne_u16_e32 vcc_lo, 0x7fff, v1
	s_delay_alu instid0(VALU_DEP_2) | instskip(SKIP_2) | instid1(VALU_DEP_3)
	v_and_b32_e32 v3, 7, v2
	v_lshrrev_b32_e32 v2, 3, v2
	v_cndmask_b32_e32 v1, 0xffff8000, v1, vcc_lo
	v_mul_u32_u24_e32 v3, 0xea, v3
	s_delay_alu instid0(VALU_DEP_2) | instskip(NEXT) | instid1(VALU_DEP_2)
	v_and_b32_e32 v1, 0xffff, v1
	v_add_lshl_u32 v3, v3, v0, 1
	s_delay_alu instid0(VALU_DEP_2) | instskip(SKIP_2) | instid1(VALU_DEP_3)
	v_lshlrev_b32_e32 v1, s0, v1
	s_waitcnt lgkmcnt(0)
	v_add_nc_u16 v4, v22, 1
	v_add_lshl_u32 v25, v3, v2, 1
	s_mov_b32 s0, exec_lo
	v_bfe_u32 v1, v1, s1, 16
	ds_store_b16 v23, v4
	ds_load_u16 v24, v25
	v_cndmask_b32_e64 v1, v1, 0, s4
	s_delay_alu instid0(VALU_DEP_1) | instskip(SKIP_1) | instid1(VALU_DEP_2)
	v_and_b32_e32 v2, 7, v1
	v_lshrrev_b32_e32 v1, 3, v1
	v_mul_u32_u24_e32 v2, 0xea, v2
	s_delay_alu instid0(VALU_DEP_1) | instskip(SKIP_2) | instid1(VALU_DEP_2)
	v_add_lshl_u32 v2, v2, v0, 1
	s_waitcnt lgkmcnt(0)
	v_add_nc_u16 v3, v24, 1
	v_add_lshl_u32 v27, v2, v1, 1
	ds_store_b16 v25, v3
	ds_load_u16 v26, v27
	s_waitcnt lgkmcnt(0)
	v_add_nc_u16 v1, v26, 1
	ds_store_b16 v27, v1
	s_waitcnt lgkmcnt(0)
	s_barrier
	buffer_gl0_inv
	ds_load_2addr_b32 v[7:8], v28 offset1:1
	ds_load_2addr_b32 v[5:6], v28 offset0:2 offset1:3
	ds_load_2addr_b32 v[1:2], v28 offset0:4 offset1:5
	;; [unrolled: 1-line block ×3, first 2 shown]
	s_waitcnt lgkmcnt(3)
	v_add_nc_u32_e32 v29, v8, v7
	s_waitcnt lgkmcnt(2)
	s_delay_alu instid0(VALU_DEP_1) | instskip(SKIP_1) | instid1(VALU_DEP_1)
	v_add3_u32 v29, v29, v5, v6
	s_waitcnt lgkmcnt(1)
	v_add3_u32 v30, v29, v1, v2
	v_mbcnt_lo_u32_b32 v29, -1, 0
	s_waitcnt lgkmcnt(0)
	s_delay_alu instid0(VALU_DEP_2) | instskip(NEXT) | instid1(VALU_DEP_2)
	v_add3_u32 v4, v30, v3, v4
	v_and_b32_e32 v30, 15, v29
	v_bfe_i32 v32, v29, 4, 1
	s_delay_alu instid0(VALU_DEP_3) | instskip(NEXT) | instid1(VALU_DEP_3)
	v_mov_b32_dpp v31, v4 row_shr:1 row_mask:0xf bank_mask:0xf
	v_cmp_ne_u32_e32 vcc_lo, 0, v30
	s_delay_alu instid0(VALU_DEP_2) | instskip(SKIP_1) | instid1(VALU_DEP_2)
	v_cndmask_b32_e32 v31, 0, v31, vcc_lo
	v_cmp_lt_u32_e32 vcc_lo, 1, v30
	v_add_nc_u32_e32 v4, v31, v4
	s_delay_alu instid0(VALU_DEP_1) | instskip(NEXT) | instid1(VALU_DEP_1)
	v_mov_b32_dpp v31, v4 row_shr:2 row_mask:0xf bank_mask:0xf
	v_cndmask_b32_e32 v31, 0, v31, vcc_lo
	v_cmp_lt_u32_e32 vcc_lo, 3, v30
	s_delay_alu instid0(VALU_DEP_2) | instskip(NEXT) | instid1(VALU_DEP_1)
	v_add_nc_u32_e32 v4, v4, v31
	v_mov_b32_dpp v31, v4 row_shr:4 row_mask:0xf bank_mask:0xf
	s_delay_alu instid0(VALU_DEP_1) | instskip(SKIP_1) | instid1(VALU_DEP_2)
	v_cndmask_b32_e32 v31, 0, v31, vcc_lo
	v_cmp_lt_u32_e32 vcc_lo, 7, v30
	v_add_nc_u32_e32 v4, v4, v31
	s_delay_alu instid0(VALU_DEP_1) | instskip(NEXT) | instid1(VALU_DEP_1)
	v_mov_b32_dpp v31, v4 row_shr:8 row_mask:0xf bank_mask:0xf
	v_dual_cndmask_b32 v30, 0, v31 :: v_dual_and_b32 v31, 0xe0, v0
	s_delay_alu instid0(VALU_DEP_1) | instskip(NEXT) | instid1(VALU_DEP_2)
	v_add_nc_u32_e32 v4, v4, v30
	v_min_u32_e32 v31, 0xca, v31
	ds_swizzle_b32 v30, v4 offset:swizzle(BROADCAST,32,15)
	v_add_nc_u32_e32 v31, 31, v31
	s_waitcnt lgkmcnt(0)
	v_and_b32_e32 v30, v32, v30
	v_lshrrev_b32_e32 v32, 5, v0
	s_delay_alu instid0(VALU_DEP_2) | instskip(NEXT) | instid1(VALU_DEP_2)
	v_add_nc_u32_e32 v4, v4, v30
	v_lshlrev_b32_e32 v30, 2, v32
	v_cmpx_eq_u32_e64 v31, v0
	s_cbranch_execz .LBB32_4
; %bb.3:
	ds_store_b32 v30, v4 offset:7488
.LBB32_4:
	s_or_b32 exec_lo, exec_lo, s0
	s_delay_alu instid0(SALU_CYCLE_1)
	s_mov_b32 s0, exec_lo
	s_waitcnt lgkmcnt(0)
	s_barrier
	buffer_gl0_inv
	v_cmpx_gt_u32_e32 8, v0
	s_cbranch_execz .LBB32_6
; %bb.5:
	v_and_b32_e32 v33, 7, v29
	s_delay_alu instid0(VALU_DEP_1) | instskip(SKIP_4) | instid1(VALU_DEP_1)
	v_cmp_ne_u32_e32 vcc_lo, 0, v33
	v_lshlrev_b32_e32 v31, 2, v0
	ds_load_b32 v32, v31 offset:7488
	s_waitcnt lgkmcnt(0)
	v_mov_b32_dpp v34, v32 row_shr:1 row_mask:0xf bank_mask:0xf
	v_cndmask_b32_e32 v34, 0, v34, vcc_lo
	v_cmp_lt_u32_e32 vcc_lo, 1, v33
	s_delay_alu instid0(VALU_DEP_2) | instskip(NEXT) | instid1(VALU_DEP_1)
	v_add_nc_u32_e32 v32, v34, v32
	v_mov_b32_dpp v34, v32 row_shr:2 row_mask:0xf bank_mask:0xf
	s_delay_alu instid0(VALU_DEP_1) | instskip(SKIP_1) | instid1(VALU_DEP_2)
	v_cndmask_b32_e32 v34, 0, v34, vcc_lo
	v_cmp_lt_u32_e32 vcc_lo, 3, v33
	v_add_nc_u32_e32 v32, v32, v34
	s_delay_alu instid0(VALU_DEP_1) | instskip(NEXT) | instid1(VALU_DEP_1)
	v_mov_b32_dpp v34, v32 row_shr:4 row_mask:0xf bank_mask:0xf
	v_cndmask_b32_e32 v33, 0, v34, vcc_lo
	s_delay_alu instid0(VALU_DEP_1)
	v_add_nc_u32_e32 v32, v32, v33
	ds_store_b32 v31, v32 offset:7488
.LBB32_6:
	s_or_b32 exec_lo, exec_lo, s0
	v_cmp_lt_u32_e32 vcc_lo, 31, v0
	v_dual_mov_b32 v0, 0 :: v_dual_mov_b32 v31, 0
	s_waitcnt lgkmcnt(0)
	s_barrier
	buffer_gl0_inv
	s_and_saveexec_b32 s0, vcc_lo
	s_cbranch_execz .LBB32_8
; %bb.7:
	ds_load_b32 v31, v30 offset:7484
.LBB32_8:
	s_or_b32 exec_lo, exec_lo, s0
	v_add_nc_u32_e32 v30, -1, v29
	s_waitcnt lgkmcnt(0)
	v_add_nc_u32_e32 v4, v31, v4
	ds_load_b32 v0, v0 offset:7516
	s_lshl_b64 s[0:1], s[2:3], 2
	v_lshlrev_b32_e32 v9, 2, v9
	v_cmp_gt_i32_e32 vcc_lo, 0, v30
	s_add_u32 s0, s6, s0
	s_addc_u32 s1, s7, s1
	v_cndmask_b32_e32 v30, v30, v29, vcc_lo
	v_cmp_eq_u32_e32 vcc_lo, 0, v29
	s_delay_alu instid0(VALU_DEP_2) | instskip(SKIP_3) | instid1(VALU_DEP_1)
	v_lshlrev_b32_e32 v30, 2, v30
	ds_bpermute_b32 v4, v30, v4
	s_waitcnt lgkmcnt(0)
	v_cndmask_b32_e32 v4, v4, v31, vcc_lo
	v_lshl_add_u32 v0, v0, 16, v4
	s_delay_alu instid0(VALU_DEP_1) | instskip(NEXT) | instid1(VALU_DEP_1)
	v_add_nc_u32_e32 v4, v0, v7
	v_add_nc_u32_e32 v7, v4, v8
	v_and_b32_e32 v8, 0xffff, v11
	v_and_b32_e32 v11, 0xffff, v12
	;; [unrolled: 1-line block ×4, first 2 shown]
	v_add_nc_u32_e32 v5, v7, v5
	v_and_b32_e32 v18, 0xffff, v26
	s_delay_alu instid0(VALU_DEP_2) | instskip(NEXT) | instid1(VALU_DEP_1)
	v_add_nc_u32_e32 v6, v5, v6
	v_add_nc_u32_e32 v1, v6, v1
	s_delay_alu instid0(VALU_DEP_1) | instskip(NEXT) | instid1(VALU_DEP_1)
	v_add_nc_u32_e32 v2, v1, v2
	v_add_nc_u32_e32 v3, v2, v3
	ds_store_2addr_b32 v28, v0, v4 offset1:1
	ds_store_2addr_b32 v28, v7, v5 offset0:2 offset1:3
	ds_store_2addr_b32 v28, v6, v1 offset0:4 offset1:5
	;; [unrolled: 1-line block ×3, first 2 shown]
	s_waitcnt lgkmcnt(0)
	s_barrier
	buffer_gl0_inv
	ds_load_u16 v0, v10
	ds_load_u16 v1, v13
	ds_load_u16 v2, v15
	ds_load_u16 v3, v17
	ds_load_u16 v4, v19
	ds_load_u16 v5, v21
	ds_load_u16 v6, v23
	ds_load_u16 v7, v25
	ds_load_u16 v10, v27
	v_and_b32_e32 v13, 0xffff, v16
	v_and_b32_e32 v15, 0xffff, v20
	;; [unrolled: 1-line block ×4, first 2 shown]
	s_waitcnt lgkmcnt(8)
	v_add_nc_u32_e32 v0, v0, v8
	s_waitcnt lgkmcnt(7)
	v_add_nc_u32_e32 v1, v1, v11
	;; [unrolled: 2-line block ×9, first 2 shown]
	s_clause 0x2
	global_store_b128 v9, v[0:3], s[0:1]
	global_store_b128 v9, v[4:7], s[0:1] offset:16
	global_store_b32 v9, v8, s[0:1] offset:32
	s_nop 0
	s_sendmsg sendmsg(MSG_DEALLOC_VGPRS)
	s_endpgm
	.section	.rodata,"a",@progbits
	.p2align	6, 0x0
	.amdhsa_kernel _Z11rank_kernelILj234ELj9ELj4ELb0EL18RadixRankAlgorithm1E6__halfEvPKT4_Pijj
		.amdhsa_group_segment_fixed_size 8432
		.amdhsa_private_segment_fixed_size 0
		.amdhsa_kernarg_size 24
		.amdhsa_user_sgpr_count 15
		.amdhsa_user_sgpr_dispatch_ptr 0
		.amdhsa_user_sgpr_queue_ptr 0
		.amdhsa_user_sgpr_kernarg_segment_ptr 1
		.amdhsa_user_sgpr_dispatch_id 0
		.amdhsa_user_sgpr_private_segment_size 0
		.amdhsa_wavefront_size32 1
		.amdhsa_uses_dynamic_stack 0
		.amdhsa_enable_private_segment 0
		.amdhsa_system_sgpr_workgroup_id_x 1
		.amdhsa_system_sgpr_workgroup_id_y 0
		.amdhsa_system_sgpr_workgroup_id_z 0
		.amdhsa_system_sgpr_workgroup_info 0
		.amdhsa_system_vgpr_workitem_id 0
		.amdhsa_next_free_vgpr 35
		.amdhsa_next_free_sgpr 16
		.amdhsa_reserve_vcc 1
		.amdhsa_float_round_mode_32 0
		.amdhsa_float_round_mode_16_64 0
		.amdhsa_float_denorm_mode_32 3
		.amdhsa_float_denorm_mode_16_64 3
		.amdhsa_dx10_clamp 1
		.amdhsa_ieee_mode 1
		.amdhsa_fp16_overflow 0
		.amdhsa_workgroup_processor_mode 1
		.amdhsa_memory_ordered 1
		.amdhsa_forward_progress 0
		.amdhsa_shared_vgpr_count 0
		.amdhsa_exception_fp_ieee_invalid_op 0
		.amdhsa_exception_fp_denorm_src 0
		.amdhsa_exception_fp_ieee_div_zero 0
		.amdhsa_exception_fp_ieee_overflow 0
		.amdhsa_exception_fp_ieee_underflow 0
		.amdhsa_exception_fp_ieee_inexact 0
		.amdhsa_exception_int_div_zero 0
	.end_amdhsa_kernel
	.section	.text._Z11rank_kernelILj234ELj9ELj4ELb0EL18RadixRankAlgorithm1E6__halfEvPKT4_Pijj,"axG",@progbits,_Z11rank_kernelILj234ELj9ELj4ELb0EL18RadixRankAlgorithm1E6__halfEvPKT4_Pijj,comdat
.Lfunc_end32:
	.size	_Z11rank_kernelILj234ELj9ELj4ELb0EL18RadixRankAlgorithm1E6__halfEvPKT4_Pijj, .Lfunc_end32-_Z11rank_kernelILj234ELj9ELj4ELb0EL18RadixRankAlgorithm1E6__halfEvPKT4_Pijj
                                        ; -- End function
	.section	.AMDGPU.csdata,"",@progbits
; Kernel info:
; codeLenInByte = 2376
; NumSgprs: 18
; NumVgprs: 35
; ScratchSize: 0
; MemoryBound: 0
; FloatMode: 240
; IeeeMode: 1
; LDSByteSize: 8432 bytes/workgroup (compile time only)
; SGPRBlocks: 2
; VGPRBlocks: 4
; NumSGPRsForWavesPerEU: 18
; NumVGPRsForWavesPerEU: 35
; Occupancy: 16
; WaveLimiterHint : 0
; COMPUTE_PGM_RSRC2:SCRATCH_EN: 0
; COMPUTE_PGM_RSRC2:USER_SGPR: 15
; COMPUTE_PGM_RSRC2:TRAP_HANDLER: 0
; COMPUTE_PGM_RSRC2:TGID_X_EN: 1
; COMPUTE_PGM_RSRC2:TGID_Y_EN: 0
; COMPUTE_PGM_RSRC2:TGID_Z_EN: 0
; COMPUTE_PGM_RSRC2:TIDIG_COMP_CNT: 0
	.section	.text._Z11rank_kernelILj100ELj3ELj4ELb0EL18RadixRankAlgorithm1EtEvPKT4_Pijj,"axG",@progbits,_Z11rank_kernelILj100ELj3ELj4ELb0EL18RadixRankAlgorithm1EtEvPKT4_Pijj,comdat
	.protected	_Z11rank_kernelILj100ELj3ELj4ELb0EL18RadixRankAlgorithm1EtEvPKT4_Pijj ; -- Begin function _Z11rank_kernelILj100ELj3ELj4ELb0EL18RadixRankAlgorithm1EtEvPKT4_Pijj
	.globl	_Z11rank_kernelILj100ELj3ELj4ELb0EL18RadixRankAlgorithm1EtEvPKT4_Pijj
	.p2align	8
	.type	_Z11rank_kernelILj100ELj3ELj4ELb0EL18RadixRankAlgorithm1EtEvPKT4_Pijj,@function
_Z11rank_kernelILj100ELj3ELj4ELb0EL18RadixRankAlgorithm1EtEvPKT4_Pijj: ; @_Z11rank_kernelILj100ELj3ELj4ELb0EL18RadixRankAlgorithm1EtEvPKT4_Pijj
; %bb.0:
	s_load_b128 s[4:7], s[0:1], 0x0
	v_mul_u32_u24_e32 v9, 3, v0
	s_mov_b32 s3, 0
	s_mul_i32 s2, s15, 0x12c
	v_lshlrev_b32_e32 v10, 2, v0
	s_lshl_b64 s[8:9], s[2:3], 1
	v_lshlrev_b32_e32 v2, 1, v9
	s_waitcnt lgkmcnt(0)
	s_add_u32 s4, s4, s8
	s_addc_u32 s5, s5, s9
	s_clause 0x1
	global_load_d16_b16 v1, v2, s[4:5] offset:4
	global_load_b32 v2, v2, s[4:5]
	s_mov_b32 s4, exec_lo
	v_cmpx_gt_u32_e32 0x320, v0
	s_cbranch_execz .LBB33_3
; %bb.1:
	v_dual_mov_b32 v4, 0 :: v_dual_add_nc_u32 v3, 0xffffff9c, v0
	v_mov_b32_e32 v5, v10
	s_mov_b32 s5, s3
.LBB33_2:                               ; =>This Inner Loop Header: Depth=1
	s_delay_alu instid0(VALU_DEP_2) | instskip(SKIP_4) | instid1(SALU_CYCLE_1)
	v_add_nc_u32_e32 v3, 0x64, v3
	ds_store_b32 v5, v4
	v_add_nc_u32_e32 v5, 0x190, v5
	v_cmp_lt_u32_e32 vcc_lo, 0x2bb, v3
	s_or_b32 s5, vcc_lo, s5
	s_and_not1_b32 exec_lo, exec_lo, s5
	s_cbranch_execnz .LBB33_2
.LBB33_3:
	s_or_b32 exec_lo, exec_lo, s4
	s_load_b64 s[0:1], s[0:1], 0x10
	s_waitcnt vmcnt(0)
	v_and_b32_e32 v3, 0xffff, v2
	v_lshrrev_b32_e32 v2, 16, v2
	v_and_b32_e32 v1, 0xffff, v1
	v_lshlrev_b32_e32 v17, 5, v0
	s_waitcnt lgkmcnt(0)
	s_and_b32 s1, s1, 31
	s_delay_alu instid0(SALU_CYCLE_1) | instskip(SKIP_2) | instid1(SALU_CYCLE_1)
	s_cmp_eq_u32 s1, 0
	s_cselect_b32 s4, -1, 0
	s_and_b32 s0, s0, 31
	s_add_i32 s0, s0, s1
	s_sub_i32 s1, 32, s1
	s_sub_i32 s0, 32, s0
	s_delay_alu instid0(SALU_CYCLE_1) | instskip(SKIP_3) | instid1(VALU_DEP_3)
	v_lshlrev_b32_e32 v3, s0, v3
	v_lshlrev_b32_e32 v2, s0, v2
	;; [unrolled: 1-line block ×3, first 2 shown]
	s_mov_b32 s0, exec_lo
	v_bfe_u32 v3, v3, s1, 16
	s_delay_alu instid0(VALU_DEP_3) | instskip(NEXT) | instid1(VALU_DEP_3)
	v_bfe_u32 v2, v2, s1, 16
	v_bfe_u32 v1, v1, s1, 16
	s_delay_alu instid0(VALU_DEP_3) | instskip(NEXT) | instid1(VALU_DEP_3)
	v_cndmask_b32_e64 v3, v3, 0, s4
	v_cndmask_b32_e64 v2, v2, 0, s4
	s_delay_alu instid0(VALU_DEP_3) | instskip(NEXT) | instid1(VALU_DEP_3)
	v_cndmask_b32_e64 v1, v1, 0, s4
	v_and_b32_e32 v4, 7, v3
	v_lshrrev_b32_e32 v3, 3, v3
	s_delay_alu instid0(VALU_DEP_2) | instskip(NEXT) | instid1(VALU_DEP_1)
	v_mul_u32_u24_e32 v4, 0x64, v4
	v_add_lshl_u32 v4, v4, v0, 1
	s_delay_alu instid0(VALU_DEP_1) | instskip(SKIP_4) | instid1(VALU_DEP_1)
	v_add_lshl_u32 v12, v4, v3, 1
	v_and_b32_e32 v3, 7, v2
	v_lshrrev_b32_e32 v2, 3, v2
	ds_load_u16 v11, v12
	v_mul_u32_u24_e32 v3, 0x64, v3
	v_add_lshl_u32 v3, v3, v0, 1
	s_delay_alu instid0(VALU_DEP_1) | instskip(SKIP_2) | instid1(VALU_DEP_2)
	v_add_lshl_u32 v14, v3, v2, 1
	v_and_b32_e32 v2, 7, v1
	v_lshrrev_b32_e32 v1, 3, v1
	v_mul_u32_u24_e32 v2, 0x64, v2
	s_waitcnt lgkmcnt(0)
	v_add_nc_u16 v4, v11, 1
	s_delay_alu instid0(VALU_DEP_2)
	v_add_lshl_u32 v2, v2, v0, 1
	ds_store_b16 v12, v4
	ds_load_u16 v13, v14
	v_add_lshl_u32 v16, v2, v1, 1
	s_waitcnt lgkmcnt(0)
	v_add_nc_u16 v3, v13, 1
	ds_store_b16 v14, v3
	ds_load_u16 v15, v16
	s_waitcnt lgkmcnt(0)
	v_add_nc_u16 v1, v15, 1
	ds_store_b16 v16, v1
	s_waitcnt lgkmcnt(0)
	s_barrier
	buffer_gl0_inv
	ds_load_2addr_b32 v[7:8], v17 offset1:1
	ds_load_2addr_b32 v[5:6], v17 offset0:2 offset1:3
	ds_load_2addr_b32 v[1:2], v17 offset0:4 offset1:5
	;; [unrolled: 1-line block ×3, first 2 shown]
	s_waitcnt lgkmcnt(3)
	v_add_nc_u32_e32 v18, v8, v7
	s_waitcnt lgkmcnt(2)
	s_delay_alu instid0(VALU_DEP_1) | instskip(SKIP_1) | instid1(VALU_DEP_1)
	v_add3_u32 v18, v18, v5, v6
	s_waitcnt lgkmcnt(1)
	v_add3_u32 v19, v18, v1, v2
	v_mbcnt_lo_u32_b32 v18, -1, 0
	s_waitcnt lgkmcnt(0)
	s_delay_alu instid0(VALU_DEP_2) | instskip(NEXT) | instid1(VALU_DEP_2)
	v_add3_u32 v4, v19, v3, v4
	v_and_b32_e32 v19, 15, v18
	v_bfe_i32 v21, v18, 4, 1
	s_delay_alu instid0(VALU_DEP_3) | instskip(NEXT) | instid1(VALU_DEP_3)
	v_mov_b32_dpp v20, v4 row_shr:1 row_mask:0xf bank_mask:0xf
	v_cmp_ne_u32_e32 vcc_lo, 0, v19
	s_delay_alu instid0(VALU_DEP_2) | instskip(SKIP_1) | instid1(VALU_DEP_2)
	v_cndmask_b32_e32 v20, 0, v20, vcc_lo
	v_cmp_lt_u32_e32 vcc_lo, 1, v19
	v_add_nc_u32_e32 v4, v20, v4
	s_delay_alu instid0(VALU_DEP_1) | instskip(NEXT) | instid1(VALU_DEP_1)
	v_mov_b32_dpp v20, v4 row_shr:2 row_mask:0xf bank_mask:0xf
	v_cndmask_b32_e32 v20, 0, v20, vcc_lo
	v_cmp_lt_u32_e32 vcc_lo, 3, v19
	s_delay_alu instid0(VALU_DEP_2) | instskip(NEXT) | instid1(VALU_DEP_1)
	v_add_nc_u32_e32 v4, v4, v20
	v_mov_b32_dpp v20, v4 row_shr:4 row_mask:0xf bank_mask:0xf
	s_delay_alu instid0(VALU_DEP_1) | instskip(SKIP_1) | instid1(VALU_DEP_2)
	v_cndmask_b32_e32 v20, 0, v20, vcc_lo
	v_cmp_lt_u32_e32 vcc_lo, 7, v19
	v_add_nc_u32_e32 v4, v4, v20
	s_delay_alu instid0(VALU_DEP_1) | instskip(NEXT) | instid1(VALU_DEP_1)
	v_mov_b32_dpp v20, v4 row_shr:8 row_mask:0xf bank_mask:0xf
	v_cndmask_b32_e32 v19, 0, v20, vcc_lo
	v_and_b32_e32 v20, 0x60, v0
	s_delay_alu instid0(VALU_DEP_2) | instskip(NEXT) | instid1(VALU_DEP_2)
	v_add_nc_u32_e32 v4, v4, v19
	v_min_u32_e32 v20, 0x44, v20
	ds_swizzle_b32 v19, v4 offset:swizzle(BROADCAST,32,15)
	v_add_nc_u32_e32 v20, 31, v20
	s_waitcnt lgkmcnt(0)
	v_and_b32_e32 v19, v21, v19
	v_lshrrev_b32_e32 v21, 5, v0
	s_delay_alu instid0(VALU_DEP_2) | instskip(NEXT) | instid1(VALU_DEP_2)
	v_add_nc_u32_e32 v4, v4, v19
	v_lshlrev_b32_e32 v19, 2, v21
	v_cmpx_eq_u32_e64 v20, v0
	s_cbranch_execz .LBB33_5
; %bb.4:
	ds_store_b32 v19, v4 offset:3200
.LBB33_5:
	s_or_b32 exec_lo, exec_lo, s0
	s_delay_alu instid0(SALU_CYCLE_1)
	s_mov_b32 s0, exec_lo
	s_waitcnt lgkmcnt(0)
	s_barrier
	buffer_gl0_inv
	v_cmpx_gt_u32_e32 4, v0
	s_cbranch_execz .LBB33_7
; %bb.6:
	ds_load_b32 v20, v10 offset:3200
	v_and_b32_e32 v21, 3, v18
	s_delay_alu instid0(VALU_DEP_1) | instskip(SKIP_2) | instid1(VALU_DEP_1)
	v_cmp_ne_u32_e32 vcc_lo, 0, v21
	s_waitcnt lgkmcnt(0)
	v_mov_b32_dpp v22, v20 row_shr:1 row_mask:0xf bank_mask:0xf
	v_cndmask_b32_e32 v22, 0, v22, vcc_lo
	v_cmp_lt_u32_e32 vcc_lo, 1, v21
	s_delay_alu instid0(VALU_DEP_2) | instskip(NEXT) | instid1(VALU_DEP_1)
	v_add_nc_u32_e32 v20, v22, v20
	v_mov_b32_dpp v22, v20 row_shr:2 row_mask:0xf bank_mask:0xf
	s_delay_alu instid0(VALU_DEP_1) | instskip(NEXT) | instid1(VALU_DEP_1)
	v_cndmask_b32_e32 v21, 0, v22, vcc_lo
	v_add_nc_u32_e32 v20, v20, v21
	ds_store_b32 v10, v20 offset:3200
.LBB33_7:
	s_or_b32 exec_lo, exec_lo, s0
	v_cmp_lt_u32_e32 vcc_lo, 31, v0
	v_mov_b32_e32 v0, 0
	v_mov_b32_e32 v10, 0
	s_waitcnt lgkmcnt(0)
	s_barrier
	buffer_gl0_inv
	s_and_saveexec_b32 s0, vcc_lo
	s_cbranch_execz .LBB33_9
; %bb.8:
	ds_load_b32 v10, v19 offset:3196
.LBB33_9:
	s_or_b32 exec_lo, exec_lo, s0
	v_add_nc_u32_e32 v19, -1, v18
	ds_load_b32 v0, v0 offset:3212
	s_lshl_b64 s[0:1], s[2:3], 2
	s_waitcnt lgkmcnt(1)
	v_add_nc_u32_e32 v4, v10, v4
	s_add_u32 s0, s6, s0
	v_cmp_gt_i32_e32 vcc_lo, 0, v19
	s_addc_u32 s1, s7, s1
	v_cndmask_b32_e32 v19, v19, v18, vcc_lo
	v_cmp_eq_u32_e32 vcc_lo, 0, v18
	s_delay_alu instid0(VALU_DEP_2) | instskip(SKIP_3) | instid1(VALU_DEP_1)
	v_lshlrev_b32_e32 v19, 2, v19
	ds_bpermute_b32 v4, v19, v4
	s_waitcnt lgkmcnt(0)
	v_cndmask_b32_e32 v4, v4, v10, vcc_lo
	v_lshl_add_u32 v0, v0, 16, v4
	s_delay_alu instid0(VALU_DEP_1) | instskip(NEXT) | instid1(VALU_DEP_1)
	v_add_nc_u32_e32 v4, v0, v7
	v_add_nc_u32_e32 v7, v4, v8
	s_delay_alu instid0(VALU_DEP_1) | instskip(NEXT) | instid1(VALU_DEP_1)
	v_add_nc_u32_e32 v5, v7, v5
	v_add_nc_u32_e32 v6, v5, v6
	;; [unrolled: 3-line block ×3, first 2 shown]
	s_delay_alu instid0(VALU_DEP_1)
	v_add_nc_u32_e32 v3, v2, v3
	ds_store_2addr_b32 v17, v0, v4 offset1:1
	ds_store_2addr_b32 v17, v7, v5 offset0:2 offset1:3
	ds_store_2addr_b32 v17, v6, v1 offset0:4 offset1:5
	ds_store_2addr_b32 v17, v2, v3 offset0:6 offset1:7
	s_waitcnt lgkmcnt(0)
	s_barrier
	buffer_gl0_inv
	ds_load_u16 v0, v12
	ds_load_u16 v1, v14
	ds_load_u16 v2, v16
	v_and_b32_e32 v3, 0xffff, v11
	v_and_b32_e32 v4, 0xffff, v13
	;; [unrolled: 1-line block ×3, first 2 shown]
	s_waitcnt lgkmcnt(2)
	s_delay_alu instid0(VALU_DEP_3)
	v_add_nc_u32_e32 v0, v0, v3
	s_waitcnt lgkmcnt(1)
	v_add_nc_u32_e32 v1, v1, v4
	s_waitcnt lgkmcnt(0)
	v_add_nc_u32_e32 v2, v2, v5
	v_lshlrev_b32_e32 v3, 2, v9
	global_store_b96 v3, v[0:2], s[0:1]
	s_nop 0
	s_sendmsg sendmsg(MSG_DEALLOC_VGPRS)
	s_endpgm
	.section	.rodata,"a",@progbits
	.p2align	6, 0x0
	.amdhsa_kernel _Z11rank_kernelILj100ELj3ELj4ELb0EL18RadixRankAlgorithm1EtEvPKT4_Pijj
		.amdhsa_group_segment_fixed_size 3216
		.amdhsa_private_segment_fixed_size 0
		.amdhsa_kernarg_size 24
		.amdhsa_user_sgpr_count 15
		.amdhsa_user_sgpr_dispatch_ptr 0
		.amdhsa_user_sgpr_queue_ptr 0
		.amdhsa_user_sgpr_kernarg_segment_ptr 1
		.amdhsa_user_sgpr_dispatch_id 0
		.amdhsa_user_sgpr_private_segment_size 0
		.amdhsa_wavefront_size32 1
		.amdhsa_uses_dynamic_stack 0
		.amdhsa_enable_private_segment 0
		.amdhsa_system_sgpr_workgroup_id_x 1
		.amdhsa_system_sgpr_workgroup_id_y 0
		.amdhsa_system_sgpr_workgroup_id_z 0
		.amdhsa_system_sgpr_workgroup_info 0
		.amdhsa_system_vgpr_workitem_id 0
		.amdhsa_next_free_vgpr 23
		.amdhsa_next_free_sgpr 16
		.amdhsa_reserve_vcc 1
		.amdhsa_float_round_mode_32 0
		.amdhsa_float_round_mode_16_64 0
		.amdhsa_float_denorm_mode_32 3
		.amdhsa_float_denorm_mode_16_64 3
		.amdhsa_dx10_clamp 1
		.amdhsa_ieee_mode 1
		.amdhsa_fp16_overflow 0
		.amdhsa_workgroup_processor_mode 1
		.amdhsa_memory_ordered 1
		.amdhsa_forward_progress 0
		.amdhsa_shared_vgpr_count 0
		.amdhsa_exception_fp_ieee_invalid_op 0
		.amdhsa_exception_fp_denorm_src 0
		.amdhsa_exception_fp_ieee_div_zero 0
		.amdhsa_exception_fp_ieee_overflow 0
		.amdhsa_exception_fp_ieee_underflow 0
		.amdhsa_exception_fp_ieee_inexact 0
		.amdhsa_exception_int_div_zero 0
	.end_amdhsa_kernel
	.section	.text._Z11rank_kernelILj100ELj3ELj4ELb0EL18RadixRankAlgorithm1EtEvPKT4_Pijj,"axG",@progbits,_Z11rank_kernelILj100ELj3ELj4ELb0EL18RadixRankAlgorithm1EtEvPKT4_Pijj,comdat
.Lfunc_end33:
	.size	_Z11rank_kernelILj100ELj3ELj4ELb0EL18RadixRankAlgorithm1EtEvPKT4_Pijj, .Lfunc_end33-_Z11rank_kernelILj100ELj3ELj4ELb0EL18RadixRankAlgorithm1EtEvPKT4_Pijj
                                        ; -- End function
	.section	.AMDGPU.csdata,"",@progbits
; Kernel info:
; codeLenInByte = 1236
; NumSgprs: 18
; NumVgprs: 23
; ScratchSize: 0
; MemoryBound: 0
; FloatMode: 240
; IeeeMode: 1
; LDSByteSize: 3216 bytes/workgroup (compile time only)
; SGPRBlocks: 2
; VGPRBlocks: 2
; NumSGPRsForWavesPerEU: 18
; NumVGPRsForWavesPerEU: 23
; Occupancy: 16
; WaveLimiterHint : 0
; COMPUTE_PGM_RSRC2:SCRATCH_EN: 0
; COMPUTE_PGM_RSRC2:USER_SGPR: 15
; COMPUTE_PGM_RSRC2:TRAP_HANDLER: 0
; COMPUTE_PGM_RSRC2:TGID_X_EN: 1
; COMPUTE_PGM_RSRC2:TGID_Y_EN: 0
; COMPUTE_PGM_RSRC2:TGID_Z_EN: 0
; COMPUTE_PGM_RSRC2:TIDIG_COMP_CNT: 0
	.section	.text._Z11rank_kernelILj464ELj2ELj4ELb1EL18RadixRankAlgorithm1EcEvPKT4_Pijj,"axG",@progbits,_Z11rank_kernelILj464ELj2ELj4ELb1EL18RadixRankAlgorithm1EcEvPKT4_Pijj,comdat
	.protected	_Z11rank_kernelILj464ELj2ELj4ELb1EL18RadixRankAlgorithm1EcEvPKT4_Pijj ; -- Begin function _Z11rank_kernelILj464ELj2ELj4ELb1EL18RadixRankAlgorithm1EcEvPKT4_Pijj
	.globl	_Z11rank_kernelILj464ELj2ELj4ELb1EL18RadixRankAlgorithm1EcEvPKT4_Pijj
	.p2align	8
	.type	_Z11rank_kernelILj464ELj2ELj4ELb1EL18RadixRankAlgorithm1EcEvPKT4_Pijj,@function
_Z11rank_kernelILj464ELj2ELj4ELb1EL18RadixRankAlgorithm1EcEvPKT4_Pijj: ; @_Z11rank_kernelILj464ELj2ELj4ELb1EL18RadixRankAlgorithm1EcEvPKT4_Pijj
; %bb.0:
	s_load_b128 s[4:7], s[0:1], 0x0
	s_mul_i32 s8, s15, 0x3a0
	v_dual_mov_b32 v2, 0 :: v_dual_lshlrev_b32 v9, 1, v0
	v_lshlrev_b32_e32 v3, 2, v0
	v_add_nc_u32_e32 v4, 0xfffffe30, v0
	s_mov_b32 s9, 0
	s_waitcnt lgkmcnt(0)
	s_add_u32 s2, s4, s8
	s_addc_u32 s3, s5, 0
	global_load_u16 v1, v9, s[2:3]
	s_mov_b32 s2, s9
.LBB34_1:                               ; =>This Inner Loop Header: Depth=1
	v_add_nc_u32_e32 v4, 0x1d0, v4
	ds_store_b32 v3, v2
	v_add_nc_u32_e32 v3, 0x740, v3
	v_cmp_lt_u32_e32 vcc_lo, 0xcaf, v4
	s_or_b32 s2, vcc_lo, s2
	s_delay_alu instid0(SALU_CYCLE_1)
	s_and_not1_b32 exec_lo, exec_lo, s2
	s_cbranch_execnz .LBB34_1
; %bb.2:
	s_or_b32 exec_lo, exec_lo, s2
	s_load_b64 s[0:1], s[0:1], 0x10
	s_waitcnt vmcnt(0)
	v_xor_b32_e32 v2, 0x80, v1
	v_lshrrev_b16 v1, 8, v1
	v_lshlrev_b32_e32 v14, 5, v0
	s_mov_b32 s4, exec_lo
	s_delay_alu instid0(VALU_DEP_3) | instskip(NEXT) | instid1(VALU_DEP_3)
	v_and_b32_e32 v2, 0xff, v2
	v_xor_b32_e32 v1, 0x80, v1
	s_delay_alu instid0(VALU_DEP_1) | instskip(SKIP_2) | instid1(SALU_CYCLE_1)
	v_and_b32_e32 v1, 0xffff, v1
	s_waitcnt lgkmcnt(0)
	s_and_b32 s1, s1, 31
	s_cmp_eq_u32 s1, 0
	s_cselect_b32 s2, -1, 0
	s_and_b32 s0, s0, 31
	s_delay_alu instid0(SALU_CYCLE_1) | instskip(SKIP_2) | instid1(SALU_CYCLE_1)
	s_add_i32 s0, s0, s1
	s_sub_i32 s1, 32, s1
	s_sub_i32 s0, 32, s0
	v_lshlrev_b32_e32 v2, s0, v2
	v_lshlrev_b32_e32 v1, s0, v1
	s_delay_alu instid0(VALU_DEP_2) | instskip(NEXT) | instid1(VALU_DEP_2)
	v_bfe_u32 v2, v2, s1, 8
	v_bfe_u32 v1, v1, s1, 8
	s_delay_alu instid0(VALU_DEP_2) | instskip(NEXT) | instid1(VALU_DEP_2)
	v_xor_b32_e32 v2, 15, v2
	v_xor_b32_e32 v1, 15, v1
	s_delay_alu instid0(VALU_DEP_2) | instskip(NEXT) | instid1(VALU_DEP_2)
	v_cndmask_b32_e64 v2, v2, 15, s2
	v_cndmask_b32_e64 v1, v1, 15, s2
	s_delay_alu instid0(VALU_DEP_2) | instskip(SKIP_1) | instid1(VALU_DEP_2)
	v_and_b32_e32 v3, 7, v2
	v_lshrrev_b32_e32 v2, 3, v2
	v_mul_u32_u24_e32 v3, 0x1d0, v3
	s_delay_alu instid0(VALU_DEP_1) | instskip(NEXT) | instid1(VALU_DEP_1)
	v_add_lshl_u32 v3, v3, v0, 1
	v_add_lshl_u32 v11, v3, v2, 1
	v_and_b32_e32 v2, 7, v1
	v_lshrrev_b32_e32 v1, 3, v1
	ds_load_u16 v10, v11
	v_mul_u32_u24_e32 v2, 0x1d0, v2
	s_delay_alu instid0(VALU_DEP_1) | instskip(NEXT) | instid1(VALU_DEP_1)
	v_add_lshl_u32 v2, v2, v0, 1
	v_add_lshl_u32 v12, v2, v1, 1
	s_waitcnt lgkmcnt(0)
	v_add_nc_u16 v3, v10, 1
	ds_store_b16 v11, v3
	ds_load_u16 v13, v12
	s_waitcnt lgkmcnt(0)
	v_add_nc_u16 v1, v13, 1
	ds_store_b16 v12, v1
	s_waitcnt lgkmcnt(0)
	s_barrier
	buffer_gl0_inv
	ds_load_2addr_b32 v[7:8], v14 offset1:1
	ds_load_2addr_b32 v[5:6], v14 offset0:2 offset1:3
	ds_load_2addr_b32 v[1:2], v14 offset0:4 offset1:5
	;; [unrolled: 1-line block ×3, first 2 shown]
	s_waitcnt lgkmcnt(3)
	v_add_nc_u32_e32 v15, v8, v7
	s_waitcnt lgkmcnt(2)
	s_delay_alu instid0(VALU_DEP_1) | instskip(SKIP_1) | instid1(VALU_DEP_1)
	v_add3_u32 v15, v15, v5, v6
	s_waitcnt lgkmcnt(1)
	v_add3_u32 v16, v15, v1, v2
	v_mbcnt_lo_u32_b32 v15, -1, 0
	s_waitcnt lgkmcnt(0)
	s_delay_alu instid0(VALU_DEP_2) | instskip(NEXT) | instid1(VALU_DEP_2)
	v_add3_u32 v4, v16, v3, v4
	v_and_b32_e32 v16, 15, v15
	v_bfe_i32 v18, v15, 4, 1
	s_delay_alu instid0(VALU_DEP_3) | instskip(NEXT) | instid1(VALU_DEP_3)
	v_mov_b32_dpp v17, v4 row_shr:1 row_mask:0xf bank_mask:0xf
	v_cmp_eq_u32_e32 vcc_lo, 0, v16
	v_cmp_lt_u32_e64 s0, 1, v16
	v_cmp_lt_u32_e64 s1, 3, v16
	;; [unrolled: 1-line block ×3, first 2 shown]
	v_cndmask_b32_e64 v17, v17, 0, vcc_lo
	s_delay_alu instid0(VALU_DEP_1) | instskip(NEXT) | instid1(VALU_DEP_1)
	v_add_nc_u32_e32 v4, v17, v4
	v_mov_b32_dpp v17, v4 row_shr:2 row_mask:0xf bank_mask:0xf
	s_delay_alu instid0(VALU_DEP_1) | instskip(NEXT) | instid1(VALU_DEP_1)
	v_cndmask_b32_e64 v17, 0, v17, s0
	v_add_nc_u32_e32 v4, v4, v17
	s_delay_alu instid0(VALU_DEP_1) | instskip(NEXT) | instid1(VALU_DEP_1)
	v_mov_b32_dpp v17, v4 row_shr:4 row_mask:0xf bank_mask:0xf
	v_cndmask_b32_e64 v17, 0, v17, s1
	s_delay_alu instid0(VALU_DEP_1) | instskip(NEXT) | instid1(VALU_DEP_1)
	v_add_nc_u32_e32 v4, v4, v17
	v_mov_b32_dpp v17, v4 row_shr:8 row_mask:0xf bank_mask:0xf
	s_delay_alu instid0(VALU_DEP_1) | instskip(SKIP_1) | instid1(VALU_DEP_2)
	v_cndmask_b32_e64 v16, 0, v17, s2
	v_and_b32_e32 v17, 0x1e0, v0
	v_add_nc_u32_e32 v4, v4, v16
	s_delay_alu instid0(VALU_DEP_2)
	v_min_u32_e32 v17, 0x1b0, v17
	ds_swizzle_b32 v16, v4 offset:swizzle(BROADCAST,32,15)
	v_add_nc_u32_e32 v17, 31, v17
	s_waitcnt lgkmcnt(0)
	v_and_b32_e32 v16, v18, v16
	v_lshrrev_b32_e32 v18, 5, v0
	s_delay_alu instid0(VALU_DEP_2) | instskip(NEXT) | instid1(VALU_DEP_2)
	v_add_nc_u32_e32 v4, v4, v16
	v_lshlrev_b32_e32 v16, 2, v18
	v_cmpx_eq_u32_e64 v17, v0
	s_cbranch_execz .LBB34_4
; %bb.3:
	ds_store_b32 v16, v4 offset:14848
.LBB34_4:
	s_or_b32 exec_lo, exec_lo, s4
	s_delay_alu instid0(SALU_CYCLE_1)
	s_mov_b32 s4, exec_lo
	s_waitcnt lgkmcnt(0)
	s_barrier
	buffer_gl0_inv
	v_cmpx_gt_u32_e32 15, v0
	s_cbranch_execz .LBB34_6
; %bb.5:
	v_lshlrev_b32_e32 v17, 2, v0
	ds_load_b32 v18, v17 offset:14848
	s_waitcnt lgkmcnt(0)
	v_mov_b32_dpp v19, v18 row_shr:1 row_mask:0xf bank_mask:0xf
	s_delay_alu instid0(VALU_DEP_1) | instskip(NEXT) | instid1(VALU_DEP_1)
	v_cndmask_b32_e64 v19, v19, 0, vcc_lo
	v_add_nc_u32_e32 v18, v19, v18
	s_delay_alu instid0(VALU_DEP_1) | instskip(NEXT) | instid1(VALU_DEP_1)
	v_mov_b32_dpp v19, v18 row_shr:2 row_mask:0xf bank_mask:0xf
	v_cndmask_b32_e64 v19, 0, v19, s0
	s_delay_alu instid0(VALU_DEP_1) | instskip(NEXT) | instid1(VALU_DEP_1)
	v_add_nc_u32_e32 v18, v18, v19
	v_mov_b32_dpp v19, v18 row_shr:4 row_mask:0xf bank_mask:0xf
	s_delay_alu instid0(VALU_DEP_1) | instskip(NEXT) | instid1(VALU_DEP_1)
	v_cndmask_b32_e64 v19, 0, v19, s1
	v_add_nc_u32_e32 v18, v18, v19
	s_delay_alu instid0(VALU_DEP_1) | instskip(NEXT) | instid1(VALU_DEP_1)
	v_mov_b32_dpp v19, v18 row_shr:8 row_mask:0xf bank_mask:0xf
	v_cndmask_b32_e64 v19, 0, v19, s2
	s_delay_alu instid0(VALU_DEP_1)
	v_add_nc_u32_e32 v18, v18, v19
	ds_store_b32 v17, v18 offset:14848
.LBB34_6:
	s_or_b32 exec_lo, exec_lo, s4
	v_cmp_lt_u32_e32 vcc_lo, 31, v0
	v_dual_mov_b32 v0, 0 :: v_dual_mov_b32 v17, 0
	s_waitcnt lgkmcnt(0)
	s_barrier
	buffer_gl0_inv
	s_and_saveexec_b32 s0, vcc_lo
	s_cbranch_execz .LBB34_8
; %bb.7:
	ds_load_b32 v17, v16 offset:14844
.LBB34_8:
	s_or_b32 exec_lo, exec_lo, s0
	v_add_nc_u32_e32 v16, -1, v15
	s_waitcnt lgkmcnt(0)
	v_add_nc_u32_e32 v4, v17, v4
	ds_load_b32 v0, v0 offset:14904
	s_lshl_b64 s[0:1], s[8:9], 2
	s_delay_alu instid0(SALU_CYCLE_1) | instskip(SKIP_4) | instid1(VALU_DEP_2)
	s_add_u32 s0, s6, s0
	v_cmp_gt_i32_e32 vcc_lo, 0, v16
	s_addc_u32 s1, s7, s1
	v_cndmask_b32_e32 v16, v16, v15, vcc_lo
	v_cmp_eq_u32_e32 vcc_lo, 0, v15
	v_lshlrev_b32_e32 v16, 2, v16
	ds_bpermute_b32 v4, v16, v4
	s_waitcnt lgkmcnt(0)
	v_cndmask_b32_e32 v4, v4, v17, vcc_lo
	s_delay_alu instid0(VALU_DEP_1) | instskip(NEXT) | instid1(VALU_DEP_1)
	v_lshl_add_u32 v0, v0, 16, v4
	v_add_nc_u32_e32 v4, v0, v7
	s_delay_alu instid0(VALU_DEP_1) | instskip(NEXT) | instid1(VALU_DEP_1)
	v_add_nc_u32_e32 v7, v4, v8
	v_add_nc_u32_e32 v5, v7, v5
	s_delay_alu instid0(VALU_DEP_1) | instskip(NEXT) | instid1(VALU_DEP_1)
	v_add_nc_u32_e32 v6, v5, v6
	;; [unrolled: 3-line block ×3, first 2 shown]
	v_add_nc_u32_e32 v3, v2, v3
	ds_store_2addr_b32 v14, v0, v4 offset1:1
	ds_store_2addr_b32 v14, v7, v5 offset0:2 offset1:3
	ds_store_2addr_b32 v14, v6, v1 offset0:4 offset1:5
	;; [unrolled: 1-line block ×3, first 2 shown]
	s_waitcnt lgkmcnt(0)
	s_barrier
	buffer_gl0_inv
	ds_load_u16 v0, v11
	ds_load_u16 v1, v12
	v_and_b32_e32 v2, 0xffff, v10
	v_and_b32_e32 v3, 0xffff, v13
	s_waitcnt lgkmcnt(1)
	s_delay_alu instid0(VALU_DEP_2) | instskip(SKIP_1) | instid1(VALU_DEP_2)
	v_add_nc_u32_e32 v0, v0, v2
	s_waitcnt lgkmcnt(0)
	v_add_nc_u32_e32 v1, v1, v3
	v_lshlrev_b32_e32 v2, 2, v9
	global_store_b64 v2, v[0:1], s[0:1]
	s_nop 0
	s_sendmsg sendmsg(MSG_DEALLOC_VGPRS)
	s_endpgm
	.section	.rodata,"a",@progbits
	.p2align	6, 0x0
	.amdhsa_kernel _Z11rank_kernelILj464ELj2ELj4ELb1EL18RadixRankAlgorithm1EcEvPKT4_Pijj
		.amdhsa_group_segment_fixed_size 14912
		.amdhsa_private_segment_fixed_size 0
		.amdhsa_kernarg_size 24
		.amdhsa_user_sgpr_count 15
		.amdhsa_user_sgpr_dispatch_ptr 0
		.amdhsa_user_sgpr_queue_ptr 0
		.amdhsa_user_sgpr_kernarg_segment_ptr 1
		.amdhsa_user_sgpr_dispatch_id 0
		.amdhsa_user_sgpr_private_segment_size 0
		.amdhsa_wavefront_size32 1
		.amdhsa_uses_dynamic_stack 0
		.amdhsa_enable_private_segment 0
		.amdhsa_system_sgpr_workgroup_id_x 1
		.amdhsa_system_sgpr_workgroup_id_y 0
		.amdhsa_system_sgpr_workgroup_id_z 0
		.amdhsa_system_sgpr_workgroup_info 0
		.amdhsa_system_vgpr_workitem_id 0
		.amdhsa_next_free_vgpr 20
		.amdhsa_next_free_sgpr 16
		.amdhsa_reserve_vcc 1
		.amdhsa_float_round_mode_32 0
		.amdhsa_float_round_mode_16_64 0
		.amdhsa_float_denorm_mode_32 3
		.amdhsa_float_denorm_mode_16_64 3
		.amdhsa_dx10_clamp 1
		.amdhsa_ieee_mode 1
		.amdhsa_fp16_overflow 0
		.amdhsa_workgroup_processor_mode 1
		.amdhsa_memory_ordered 1
		.amdhsa_forward_progress 0
		.amdhsa_shared_vgpr_count 0
		.amdhsa_exception_fp_ieee_invalid_op 0
		.amdhsa_exception_fp_denorm_src 0
		.amdhsa_exception_fp_ieee_div_zero 0
		.amdhsa_exception_fp_ieee_overflow 0
		.amdhsa_exception_fp_ieee_underflow 0
		.amdhsa_exception_fp_ieee_inexact 0
		.amdhsa_exception_int_div_zero 0
	.end_amdhsa_kernel
	.section	.text._Z11rank_kernelILj464ELj2ELj4ELb1EL18RadixRankAlgorithm1EcEvPKT4_Pijj,"axG",@progbits,_Z11rank_kernelILj464ELj2ELj4ELb1EL18RadixRankAlgorithm1EcEvPKT4_Pijj,comdat
.Lfunc_end34:
	.size	_Z11rank_kernelILj464ELj2ELj4ELb1EL18RadixRankAlgorithm1EcEvPKT4_Pijj, .Lfunc_end34-_Z11rank_kernelILj464ELj2ELj4ELb1EL18RadixRankAlgorithm1EcEvPKT4_Pijj
                                        ; -- End function
	.section	.AMDGPU.csdata,"",@progbits
; Kernel info:
; codeLenInByte = 1200
; NumSgprs: 18
; NumVgprs: 20
; ScratchSize: 0
; MemoryBound: 0
; FloatMode: 240
; IeeeMode: 1
; LDSByteSize: 14912 bytes/workgroup (compile time only)
; SGPRBlocks: 2
; VGPRBlocks: 2
; NumSGPRsForWavesPerEU: 18
; NumVGPRsForWavesPerEU: 20
; Occupancy: 15
; WaveLimiterHint : 0
; COMPUTE_PGM_RSRC2:SCRATCH_EN: 0
; COMPUTE_PGM_RSRC2:USER_SGPR: 15
; COMPUTE_PGM_RSRC2:TRAP_HANDLER: 0
; COMPUTE_PGM_RSRC2:TGID_X_EN: 1
; COMPUTE_PGM_RSRC2:TGID_Y_EN: 0
; COMPUTE_PGM_RSRC2:TGID_Z_EN: 0
; COMPUTE_PGM_RSRC2:TIDIG_COMP_CNT: 0
	.section	.text._Z11rank_kernelILj33ELj5ELj4ELb0EL18RadixRankAlgorithm1EdEvPKT4_Pijj,"axG",@progbits,_Z11rank_kernelILj33ELj5ELj4ELb0EL18RadixRankAlgorithm1EdEvPKT4_Pijj,comdat
	.protected	_Z11rank_kernelILj33ELj5ELj4ELb0EL18RadixRankAlgorithm1EdEvPKT4_Pijj ; -- Begin function _Z11rank_kernelILj33ELj5ELj4ELb0EL18RadixRankAlgorithm1EdEvPKT4_Pijj
	.globl	_Z11rank_kernelILj33ELj5ELj4ELb0EL18RadixRankAlgorithm1EdEvPKT4_Pijj
	.p2align	8
	.type	_Z11rank_kernelILj33ELj5ELj4ELb0EL18RadixRankAlgorithm1EdEvPKT4_Pijj,@function
_Z11rank_kernelILj33ELj5ELj4ELb0EL18RadixRankAlgorithm1EdEvPKT4_Pijj: ; @_Z11rank_kernelILj33ELj5ELj4ELb0EL18RadixRankAlgorithm1EdEvPKT4_Pijj
; %bb.0:
	s_load_b128 s[4:7], s[0:1], 0x0
	v_mul_u32_u24_e32 v14, 5, v0
	s_mov_b32 s3, 0
	s_mul_i32 s2, s15, 0xa5
	v_lshlrev_b32_e32 v15, 2, v0
	s_lshl_b64 s[8:9], s[2:3], 3
	v_lshlrev_b32_e32 v5, 3, v14
	s_waitcnt lgkmcnt(0)
	s_add_u32 s4, s4, s8
	s_addc_u32 s5, s5, s9
	s_clause 0x2
	global_load_b64 v[9:10], v5, s[4:5] offset:32
	global_load_b128 v[1:4], v5, s[4:5] offset:16
	global_load_b128 v[5:8], v5, s[4:5]
	s_mov_b32 s4, exec_lo
	v_cmpx_gt_u32_e32 0x108, v0
	s_cbranch_execz .LBB35_3
; %bb.1:
	v_subrev_nc_u32_e32 v11, 33, v0
	v_dual_mov_b32 v12, 0 :: v_dual_mov_b32 v13, v15
	s_mov_b32 s5, s3
.LBB35_2:                               ; =>This Inner Loop Header: Depth=1
	s_delay_alu instid0(VALU_DEP_2) | instskip(SKIP_4) | instid1(SALU_CYCLE_1)
	v_add_nc_u32_e32 v11, 33, v11
	ds_store_b32 v13, v12
	v_add_nc_u32_e32 v13, 0x84, v13
	v_cmp_lt_u32_e32 vcc_lo, 0xe6, v11
	s_or_b32 s5, vcc_lo, s5
	s_and_not1_b32 exec_lo, exec_lo, s5
	s_cbranch_execnz .LBB35_2
.LBB35_3:
	s_or_b32 exec_lo, exec_lo, s4
	s_load_b64 s[0:1], s[0:1], 0x10
	v_dual_mov_b32 v11, 0 :: v_dual_mov_b32 v12, 0
	s_waitcnt lgkmcnt(0)
	s_and_b32 s1, s1, 63
	s_delay_alu instid0(SALU_CYCLE_1)
	s_cmp_lg_u32 s1, 0
	s_cselect_b32 s5, -1, 0
	s_sub_u32 s4, 64, s1
	s_and_b32 vcc_lo, exec_lo, s5
	s_cbranch_vccz .LBB35_5
; %bb.4:
	s_waitcnt vmcnt(0)
	v_cmp_lt_i64_e32 vcc_lo, -1, v[5:6]
	v_ashrrev_i32_e32 v13, 31, v6
	s_mov_b32 s8, -1
	s_brev_b32 s9, -2
	s_delay_alu instid0(VALU_DEP_1) | instskip(SKIP_1) | instid1(VALU_DEP_1)
	v_xor_b32_e32 v5, v13, v5
	v_cndmask_b32_e64 v12, -1, 0x80000000, vcc_lo
	v_xor_b32_e32 v6, v12, v6
	s_delay_alu instid0(VALU_DEP_1) | instskip(SKIP_1) | instid1(SALU_CYCLE_1)
	v_cmp_ne_u64_e32 vcc_lo, s[8:9], v[5:6]
	s_and_b32 s8, s0, 63
	s_add_i32 s8, s8, s1
	s_delay_alu instid0(SALU_CYCLE_1) | instskip(SKIP_2) | instid1(VALU_DEP_1)
	s_sub_i32 s8, 64, s8
	v_cndmask_b32_e32 v6, 0x80000000, v6, vcc_lo
	v_cndmask_b32_e32 v5, 0, v5, vcc_lo
	v_lshlrev_b64 v[5:6], s8, v[5:6]
	s_delay_alu instid0(VALU_DEP_1)
	v_lshrrev_b64 v[12:13], s4, v[5:6]
.LBB35_5:
	s_waitcnt vmcnt(0)
	s_delay_alu instid0(VALU_DEP_1) | instskip(SKIP_3) | instid1(VALU_DEP_3)
	v_and_b32_e32 v5, 7, v12
	v_lshrrev_b32_e32 v6, 3, v12
	v_cndmask_b32_e64 v21, 0, 1, s5
	s_and_not1_b32 vcc_lo, exec_lo, s5
	v_mul_u32_u24_e32 v5, 33, v5
	s_delay_alu instid0(VALU_DEP_1) | instskip(NEXT) | instid1(VALU_DEP_1)
	v_add_lshl_u32 v5, v5, v0, 1
	v_add_lshl_u32 v16, v5, v6, 1
	v_mov_b32_e32 v5, 0
	ds_load_u16 v13, v16
	s_waitcnt lgkmcnt(0)
	v_add_nc_u16 v6, v13, 1
	ds_store_b16 v16, v6
	s_cbranch_vccnz .LBB35_7
; %bb.6:
	v_cmp_lt_i64_e32 vcc_lo, -1, v[7:8]
	v_ashrrev_i32_e32 v12, 31, v8
	s_mov_b32 s8, -1
	s_brev_b32 s9, -2
	s_and_b32 s5, s0, 63
	s_delay_alu instid0(SALU_CYCLE_1) | instskip(SKIP_2) | instid1(VALU_DEP_1)
	s_add_i32 s5, s5, s1
	v_cndmask_b32_e64 v5, -1, 0x80000000, vcc_lo
	s_sub_i32 s5, 64, s5
	v_xor_b32_e32 v6, v5, v8
	v_xor_b32_e32 v5, v12, v7
	s_delay_alu instid0(VALU_DEP_1) | instskip(SKIP_2) | instid1(VALU_DEP_1)
	v_cmp_ne_u64_e32 vcc_lo, s[8:9], v[5:6]
	v_cndmask_b32_e32 v6, 0x80000000, v6, vcc_lo
	v_cndmask_b32_e32 v5, 0, v5, vcc_lo
	v_lshlrev_b64 v[5:6], s5, v[5:6]
	s_delay_alu instid0(VALU_DEP_1)
	v_lshrrev_b64 v[5:6], s4, v[5:6]
.LBB35_7:
	s_delay_alu instid0(VALU_DEP_1) | instskip(SKIP_2) | instid1(VALU_DEP_3)
	v_and_b32_e32 v6, 7, v5
	v_lshrrev_b32_e32 v5, 3, v5
	v_cmp_ne_u32_e32 vcc_lo, 1, v21
	v_mul_u32_u24_e32 v6, 33, v6
	s_and_b32 vcc_lo, exec_lo, vcc_lo
	s_delay_alu instid0(VALU_DEP_1) | instskip(NEXT) | instid1(VALU_DEP_1)
	v_add_lshl_u32 v6, v6, v0, 1
	v_add_lshl_u32 v18, v6, v5, 1
	ds_load_u16 v17, v18
	s_waitcnt lgkmcnt(0)
	v_add_nc_u16 v5, v17, 1
	ds_store_b16 v18, v5
	s_cbranch_vccnz .LBB35_9
; %bb.8:
	v_cmp_lt_i64_e32 vcc_lo, -1, v[1:2]
	v_ashrrev_i32_e32 v6, 31, v2
	s_mov_b32 s8, -1
	s_brev_b32 s9, -2
	s_and_b32 s5, s0, 63
	s_delay_alu instid0(VALU_DEP_1) | instskip(SKIP_2) | instid1(SALU_CYCLE_1)
	v_xor_b32_e32 v1, v6, v1
	v_cndmask_b32_e64 v5, -1, 0x80000000, vcc_lo
	s_add_i32 s5, s5, s1
	s_sub_i32 s5, 64, s5
	s_delay_alu instid0(VALU_DEP_1) | instskip(NEXT) | instid1(VALU_DEP_1)
	v_xor_b32_e32 v2, v5, v2
	v_cmp_ne_u64_e32 vcc_lo, s[8:9], v[1:2]
	v_cndmask_b32_e32 v2, 0x80000000, v2, vcc_lo
	v_cndmask_b32_e32 v1, 0, v1, vcc_lo
	s_delay_alu instid0(VALU_DEP_1) | instskip(NEXT) | instid1(VALU_DEP_1)
	v_lshlrev_b64 v[1:2], s5, v[1:2]
	v_lshrrev_b64 v[11:12], s4, v[1:2]
.LBB35_9:
	s_delay_alu instid0(VALU_DEP_1) | instskip(SKIP_2) | instid1(VALU_DEP_3)
	v_and_b32_e32 v1, 7, v11
	v_lshrrev_b32_e32 v2, 3, v11
	v_cmp_ne_u32_e32 vcc_lo, 1, v21
	v_mul_u32_u24_e32 v1, 33, v1
	s_and_b32 vcc_lo, exec_lo, vcc_lo
	s_delay_alu instid0(VALU_DEP_1) | instskip(NEXT) | instid1(VALU_DEP_1)
	v_add_lshl_u32 v1, v1, v0, 1
	v_add_lshl_u32 v12, v1, v2, 1
	v_dual_mov_b32 v2, 0 :: v_dual_mov_b32 v1, 0
	ds_load_u16 v11, v12
	s_waitcnt lgkmcnt(0)
	v_add_nc_u16 v5, v11, 1
	ds_store_b16 v12, v5
	s_cbranch_vccnz .LBB35_11
; %bb.10:
	v_cmp_lt_i64_e32 vcc_lo, -1, v[3:4]
	v_ashrrev_i32_e32 v5, 31, v4
	s_mov_b32 s8, -1
	s_brev_b32 s9, -2
	s_and_b32 s5, s0, 63
	s_delay_alu instid0(VALU_DEP_1) | instskip(SKIP_2) | instid1(SALU_CYCLE_1)
	v_xor_b32_e32 v3, v5, v3
	v_cndmask_b32_e64 v2, -1, 0x80000000, vcc_lo
	s_add_i32 s5, s5, s1
	s_sub_i32 s5, 64, s5
	s_delay_alu instid0(VALU_DEP_1) | instskip(NEXT) | instid1(VALU_DEP_1)
	v_xor_b32_e32 v4, v2, v4
	v_cmp_ne_u64_e32 vcc_lo, s[8:9], v[3:4]
	v_cndmask_b32_e32 v4, 0x80000000, v4, vcc_lo
	v_cndmask_b32_e32 v3, 0, v3, vcc_lo
	s_delay_alu instid0(VALU_DEP_1) | instskip(NEXT) | instid1(VALU_DEP_1)
	v_lshlrev_b64 v[2:3], s5, v[3:4]
	v_lshrrev_b64 v[2:3], s4, v[2:3]
.LBB35_11:
	s_delay_alu instid0(VALU_DEP_1) | instskip(SKIP_2) | instid1(VALU_DEP_3)
	v_and_b32_e32 v3, 7, v2
	v_lshrrev_b32_e32 v2, 3, v2
	v_cmp_ne_u32_e32 vcc_lo, 1, v21
	v_mul_u32_u24_e32 v3, 33, v3
	s_and_b32 vcc_lo, exec_lo, vcc_lo
	s_delay_alu instid0(VALU_DEP_1) | instskip(NEXT) | instid1(VALU_DEP_1)
	v_add_lshl_u32 v3, v3, v0, 1
	v_add_lshl_u32 v20, v3, v2, 1
	ds_load_u16 v19, v20
	s_waitcnt lgkmcnt(0)
	v_add_nc_u16 v2, v19, 1
	ds_store_b16 v20, v2
	s_cbranch_vccnz .LBB35_13
; %bb.12:
	v_cmp_lt_i64_e32 vcc_lo, -1, v[9:10]
	v_ashrrev_i32_e32 v3, 31, v10
	s_mov_b32 s8, -1
	s_brev_b32 s9, -2
	s_and_b32 s0, s0, 63
	s_delay_alu instid0(SALU_CYCLE_1) | instskip(SKIP_2) | instid1(VALU_DEP_1)
	s_add_i32 s0, s0, s1
	v_cndmask_b32_e64 v1, -1, 0x80000000, vcc_lo
	s_sub_i32 s0, 64, s0
	v_xor_b32_e32 v2, v1, v10
	v_xor_b32_e32 v1, v3, v9
	s_delay_alu instid0(VALU_DEP_1) | instskip(SKIP_2) | instid1(VALU_DEP_1)
	v_cmp_ne_u64_e32 vcc_lo, s[8:9], v[1:2]
	v_cndmask_b32_e32 v2, 0x80000000, v2, vcc_lo
	v_cndmask_b32_e32 v1, 0, v1, vcc_lo
	v_lshlrev_b64 v[1:2], s0, v[1:2]
	s_delay_alu instid0(VALU_DEP_1)
	v_lshrrev_b64 v[1:2], s4, v[1:2]
.LBB35_13:
	s_delay_alu instid0(VALU_DEP_1) | instskip(SKIP_2) | instid1(VALU_DEP_3)
	v_and_b32_e32 v2, 7, v1
	v_lshrrev_b32_e32 v1, 3, v1
	v_lshlrev_b32_e32 v21, 5, v0
	v_mul_u32_u24_e32 v2, 33, v2
	s_delay_alu instid0(VALU_DEP_1) | instskip(NEXT) | instid1(VALU_DEP_1)
	v_add_lshl_u32 v2, v2, v0, 1
	v_add_lshl_u32 v9, v2, v1, 1
	ds_load_u16 v10, v9
	s_waitcnt lgkmcnt(0)
	v_add_nc_u16 v1, v10, 1
	ds_store_b16 v9, v1
	s_waitcnt lgkmcnt(0)
	s_barrier
	buffer_gl0_inv
	ds_load_2addr_b32 v[7:8], v21 offset1:1
	ds_load_2addr_b32 v[5:6], v21 offset0:2 offset1:3
	ds_load_2addr_b32 v[1:2], v21 offset0:4 offset1:5
	ds_load_2addr_b32 v[3:4], v21 offset0:6 offset1:7
	s_waitcnt lgkmcnt(3)
	v_add_nc_u32_e32 v22, v8, v7
	s_waitcnt lgkmcnt(2)
	s_delay_alu instid0(VALU_DEP_1) | instskip(SKIP_1) | instid1(VALU_DEP_1)
	v_add3_u32 v22, v22, v5, v6
	s_waitcnt lgkmcnt(1)
	v_add3_u32 v23, v22, v1, v2
	v_mbcnt_lo_u32_b32 v22, -1, 0
	s_waitcnt lgkmcnt(0)
	s_delay_alu instid0(VALU_DEP_2) | instskip(NEXT) | instid1(VALU_DEP_1)
	v_add3_u32 v4, v23, v3, v4
	v_mov_b32_dpp v24, v4 row_shr:1 row_mask:0xf bank_mask:0xf
	s_delay_alu instid0(VALU_DEP_3) | instskip(NEXT) | instid1(VALU_DEP_1)
	v_and_b32_e32 v23, 15, v22
	v_cmp_ne_u32_e32 vcc_lo, 0, v23
	s_delay_alu instid0(VALU_DEP_3) | instskip(SKIP_1) | instid1(VALU_DEP_2)
	v_cndmask_b32_e32 v24, 0, v24, vcc_lo
	v_cmp_lt_u32_e32 vcc_lo, 1, v23
	v_add_nc_u32_e32 v4, v24, v4
	s_delay_alu instid0(VALU_DEP_1) | instskip(NEXT) | instid1(VALU_DEP_1)
	v_mov_b32_dpp v24, v4 row_shr:2 row_mask:0xf bank_mask:0xf
	v_cndmask_b32_e32 v24, 0, v24, vcc_lo
	v_cmp_lt_u32_e32 vcc_lo, 3, v23
	s_delay_alu instid0(VALU_DEP_2) | instskip(NEXT) | instid1(VALU_DEP_1)
	v_add_nc_u32_e32 v4, v4, v24
	v_mov_b32_dpp v24, v4 row_shr:4 row_mask:0xf bank_mask:0xf
	s_delay_alu instid0(VALU_DEP_1) | instskip(SKIP_1) | instid1(VALU_DEP_2)
	v_cndmask_b32_e32 v24, 0, v24, vcc_lo
	v_cmp_lt_u32_e32 vcc_lo, 7, v23
	v_add_nc_u32_e32 v4, v4, v24
	s_delay_alu instid0(VALU_DEP_1) | instskip(NEXT) | instid1(VALU_DEP_1)
	v_mov_b32_dpp v24, v4 row_shr:8 row_mask:0xf bank_mask:0xf
	v_cndmask_b32_e32 v23, 0, v24, vcc_lo
	v_bfe_i32 v24, v22, 4, 1
	v_cmp_gt_u32_e32 vcc_lo, 32, v0
	s_delay_alu instid0(VALU_DEP_3)
	v_add_nc_u32_e32 v4, v4, v23
	v_cndmask_b32_e64 v25, 32, 31, vcc_lo
	v_cmp_lt_u32_e32 vcc_lo, 31, v0
	ds_swizzle_b32 v23, v4 offset:swizzle(BROADCAST,32,15)
	v_cmp_eq_u32_e64 s0, v25, v0
	s_waitcnt lgkmcnt(0)
	v_and_b32_e32 v23, v24, v23
	v_lshrrev_b32_e32 v24, 5, v0
	s_delay_alu instid0(VALU_DEP_2) | instskip(NEXT) | instid1(VALU_DEP_2)
	v_add_nc_u32_e32 v4, v4, v23
	v_lshlrev_b32_e32 v23, 2, v24
	s_and_saveexec_b32 s1, s0
	s_delay_alu instid0(SALU_CYCLE_1)
	s_xor_b32 s0, exec_lo, s1
	s_cbranch_execz .LBB35_15
; %bb.14:
	ds_store_b32 v23, v4 offset:1056
.LBB35_15:
	s_or_b32 exec_lo, exec_lo, s0
	s_delay_alu instid0(SALU_CYCLE_1)
	s_mov_b32 s1, exec_lo
	s_waitcnt lgkmcnt(0)
	s_barrier
	buffer_gl0_inv
	v_cmpx_gt_u32_e32 2, v0
	s_cbranch_execz .LBB35_17
; %bb.16:
	ds_load_b32 v0, v15 offset:1056
	v_bfe_i32 v24, v22, 0, 1
	s_waitcnt lgkmcnt(0)
	v_mov_b32_dpp v25, v0 row_shr:1 row_mask:0xf bank_mask:0xf
	s_delay_alu instid0(VALU_DEP_1) | instskip(NEXT) | instid1(VALU_DEP_1)
	v_and_b32_e32 v24, v24, v25
	v_add_nc_u32_e32 v0, v24, v0
	ds_store_b32 v15, v0 offset:1056
.LBB35_17:
	s_or_b32 exec_lo, exec_lo, s1
	v_dual_mov_b32 v0, 0 :: v_dual_mov_b32 v15, 0
	s_waitcnt lgkmcnt(0)
	s_barrier
	buffer_gl0_inv
	s_and_saveexec_b32 s0, vcc_lo
	s_cbranch_execz .LBB35_19
; %bb.18:
	ds_load_b32 v15, v23 offset:1052
.LBB35_19:
	s_or_b32 exec_lo, exec_lo, s0
	v_add_nc_u32_e32 v23, -1, v22
	s_waitcnt lgkmcnt(0)
	v_add_nc_u32_e32 v4, v15, v4
	ds_load_b32 v0, v0 offset:1060
	s_lshl_b64 s[0:1], s[2:3], 2
	s_delay_alu instid0(SALU_CYCLE_1) | instskip(SKIP_4) | instid1(VALU_DEP_2)
	s_add_u32 s0, s6, s0
	v_cmp_gt_i32_e32 vcc_lo, 0, v23
	s_addc_u32 s1, s7, s1
	v_cndmask_b32_e32 v23, v23, v22, vcc_lo
	v_cmp_eq_u32_e32 vcc_lo, 0, v22
	v_lshlrev_b32_e32 v23, 2, v23
	ds_bpermute_b32 v4, v23, v4
	s_waitcnt lgkmcnt(0)
	v_cndmask_b32_e32 v4, v4, v15, vcc_lo
	s_delay_alu instid0(VALU_DEP_1) | instskip(NEXT) | instid1(VALU_DEP_1)
	v_lshl_add_u32 v0, v0, 16, v4
	v_add_nc_u32_e32 v4, v0, v7
	s_delay_alu instid0(VALU_DEP_1) | instskip(SKIP_1) | instid1(VALU_DEP_2)
	v_add_nc_u32_e32 v7, v4, v8
	v_and_b32_e32 v8, 0xffff, v17
	v_add_nc_u32_e32 v5, v7, v5
	s_delay_alu instid0(VALU_DEP_1) | instskip(NEXT) | instid1(VALU_DEP_1)
	v_add_nc_u32_e32 v6, v5, v6
	v_add_nc_u32_e32 v1, v6, v1
	s_delay_alu instid0(VALU_DEP_1) | instskip(NEXT) | instid1(VALU_DEP_1)
	v_add_nc_u32_e32 v2, v1, v2
	v_add_nc_u32_e32 v3, v2, v3
	ds_store_2addr_b32 v21, v0, v4 offset1:1
	ds_store_2addr_b32 v21, v7, v5 offset0:2 offset1:3
	ds_store_2addr_b32 v21, v6, v1 offset0:4 offset1:5
	;; [unrolled: 1-line block ×3, first 2 shown]
	s_waitcnt lgkmcnt(0)
	s_barrier
	buffer_gl0_inv
	ds_load_u16 v0, v16
	ds_load_u16 v1, v18
	;; [unrolled: 1-line block ×5, first 2 shown]
	v_and_b32_e32 v6, 0xffff, v19
	v_and_b32_e32 v7, 0xffff, v13
	;; [unrolled: 1-line block ×4, first 2 shown]
	v_lshlrev_b32_e32 v10, 2, v14
	s_waitcnt lgkmcnt(4)
	v_add_nc_u32_e32 v0, v0, v7
	s_waitcnt lgkmcnt(3)
	v_add_nc_u32_e32 v1, v1, v8
	;; [unrolled: 2-line block ×5, first 2 shown]
	s_clause 0x1
	global_store_b128 v10, v[0:3], s[0:1]
	global_store_b32 v10, v4, s[0:1] offset:16
	s_nop 0
	s_sendmsg sendmsg(MSG_DEALLOC_VGPRS)
	s_endpgm
	.section	.rodata,"a",@progbits
	.p2align	6, 0x0
	.amdhsa_kernel _Z11rank_kernelILj33ELj5ELj4ELb0EL18RadixRankAlgorithm1EdEvPKT4_Pijj
		.amdhsa_group_segment_fixed_size 1328
		.amdhsa_private_segment_fixed_size 0
		.amdhsa_kernarg_size 24
		.amdhsa_user_sgpr_count 15
		.amdhsa_user_sgpr_dispatch_ptr 0
		.amdhsa_user_sgpr_queue_ptr 0
		.amdhsa_user_sgpr_kernarg_segment_ptr 1
		.amdhsa_user_sgpr_dispatch_id 0
		.amdhsa_user_sgpr_private_segment_size 0
		.amdhsa_wavefront_size32 1
		.amdhsa_uses_dynamic_stack 0
		.amdhsa_enable_private_segment 0
		.amdhsa_system_sgpr_workgroup_id_x 1
		.amdhsa_system_sgpr_workgroup_id_y 0
		.amdhsa_system_sgpr_workgroup_id_z 0
		.amdhsa_system_sgpr_workgroup_info 0
		.amdhsa_system_vgpr_workitem_id 0
		.amdhsa_next_free_vgpr 26
		.amdhsa_next_free_sgpr 16
		.amdhsa_reserve_vcc 1
		.amdhsa_float_round_mode_32 0
		.amdhsa_float_round_mode_16_64 0
		.amdhsa_float_denorm_mode_32 3
		.amdhsa_float_denorm_mode_16_64 3
		.amdhsa_dx10_clamp 1
		.amdhsa_ieee_mode 1
		.amdhsa_fp16_overflow 0
		.amdhsa_workgroup_processor_mode 1
		.amdhsa_memory_ordered 1
		.amdhsa_forward_progress 0
		.amdhsa_shared_vgpr_count 0
		.amdhsa_exception_fp_ieee_invalid_op 0
		.amdhsa_exception_fp_denorm_src 0
		.amdhsa_exception_fp_ieee_div_zero 0
		.amdhsa_exception_fp_ieee_overflow 0
		.amdhsa_exception_fp_ieee_underflow 0
		.amdhsa_exception_fp_ieee_inexact 0
		.amdhsa_exception_int_div_zero 0
	.end_amdhsa_kernel
	.section	.text._Z11rank_kernelILj33ELj5ELj4ELb0EL18RadixRankAlgorithm1EdEvPKT4_Pijj,"axG",@progbits,_Z11rank_kernelILj33ELj5ELj4ELb0EL18RadixRankAlgorithm1EdEvPKT4_Pijj,comdat
.Lfunc_end35:
	.size	_Z11rank_kernelILj33ELj5ELj4ELb0EL18RadixRankAlgorithm1EdEvPKT4_Pijj, .Lfunc_end35-_Z11rank_kernelILj33ELj5ELj4ELb0EL18RadixRankAlgorithm1EdEvPKT4_Pijj
                                        ; -- End function
	.section	.AMDGPU.csdata,"",@progbits
; Kernel info:
; codeLenInByte = 1828
; NumSgprs: 18
; NumVgprs: 26
; ScratchSize: 0
; MemoryBound: 0
; FloatMode: 240
; IeeeMode: 1
; LDSByteSize: 1328 bytes/workgroup (compile time only)
; SGPRBlocks: 2
; VGPRBlocks: 3
; NumSGPRsForWavesPerEU: 18
; NumVGPRsForWavesPerEU: 26
; Occupancy: 16
; WaveLimiterHint : 0
; COMPUTE_PGM_RSRC2:SCRATCH_EN: 0
; COMPUTE_PGM_RSRC2:USER_SGPR: 15
; COMPUTE_PGM_RSRC2:TRAP_HANDLER: 0
; COMPUTE_PGM_RSRC2:TGID_X_EN: 1
; COMPUTE_PGM_RSRC2:TGID_Y_EN: 0
; COMPUTE_PGM_RSRC2:TGID_Z_EN: 0
; COMPUTE_PGM_RSRC2:TIDIG_COMP_CNT: 0
	.section	.text._Z11rank_kernelILj512ELj2ELj4ELb0EL18RadixRankAlgorithm1EfEvPKT4_Pijj,"axG",@progbits,_Z11rank_kernelILj512ELj2ELj4ELb0EL18RadixRankAlgorithm1EfEvPKT4_Pijj,comdat
	.protected	_Z11rank_kernelILj512ELj2ELj4ELb0EL18RadixRankAlgorithm1EfEvPKT4_Pijj ; -- Begin function _Z11rank_kernelILj512ELj2ELj4ELb0EL18RadixRankAlgorithm1EfEvPKT4_Pijj
	.globl	_Z11rank_kernelILj512ELj2ELj4ELb0EL18RadixRankAlgorithm1EfEvPKT4_Pijj
	.p2align	8
	.type	_Z11rank_kernelILj512ELj2ELj4ELb0EL18RadixRankAlgorithm1EfEvPKT4_Pijj,@function
_Z11rank_kernelILj512ELj2ELj4ELb0EL18RadixRankAlgorithm1EfEvPKT4_Pijj: ; @_Z11rank_kernelILj512ELj2ELj4ELb0EL18RadixRankAlgorithm1EfEvPKT4_Pijj
; %bb.0:
	s_load_b128 s[4:7], s[0:1], 0x0
	s_lshl_b32 s2, s15, 10
	s_mov_b32 s3, 0
	v_lshlrev_b32_e32 v1, 3, v0
	s_lshl_b64 s[8:9], s[2:3], 2
	v_lshlrev_b32_e32 v9, 1, v0
	v_dual_mov_b32 v3, 0 :: v_dual_lshlrev_b32 v4, 2, v0
	v_or_b32_e32 v5, 0xfffffe00, v0
	s_waitcnt lgkmcnt(0)
	s_add_u32 s4, s4, s8
	s_addc_u32 s5, s5, s9
	global_load_b64 v[1:2], v1, s[4:5]
.LBB36_1:                               ; =>This Inner Loop Header: Depth=1
	v_add_nc_u32_e32 v5, 0x200, v5
	ds_store_b32 v4, v3
	v_add_nc_u32_e32 v4, 0x800, v4
	v_cmp_lt_u32_e32 vcc_lo, 0xdff, v5
	s_or_b32 s3, vcc_lo, s3
	s_delay_alu instid0(SALU_CYCLE_1)
	s_and_not1_b32 exec_lo, exec_lo, s3
	s_cbranch_execnz .LBB36_1
; %bb.2:
	s_or_b32 exec_lo, exec_lo, s3
	s_load_b64 s[0:1], s[0:1], 0x10
	s_waitcnt vmcnt(0)
	v_cmp_lt_i32_e32 vcc_lo, -1, v1
	v_lshlrev_b32_e32 v14, 5, v0
	v_or_b32_e32 v18, 31, v0
	s_mov_b32 s4, exec_lo
	v_cndmask_b32_e64 v3, -1, 0x80000000, vcc_lo
	s_delay_alu instid0(VALU_DEP_1) | instskip(NEXT) | instid1(VALU_DEP_1)
	v_xor_b32_e32 v1, v3, v1
	v_cmp_ne_u32_e32 vcc_lo, 0x7fffffff, v1
	s_waitcnt lgkmcnt(0)
	s_and_b32 s1, s1, 31
	v_cndmask_b32_e32 v1, 0x80000000, v1, vcc_lo
	s_cmp_eq_u32 s1, 0
	v_cmp_lt_i32_e32 vcc_lo, -1, v2
	s_cselect_b32 s2, -1, 0
	s_and_b32 s0, s0, 31
	s_delay_alu instid0(SALU_CYCLE_1) | instskip(SKIP_4) | instid1(VALU_DEP_2)
	s_add_i32 s0, s0, s1
	s_sub_i32 s1, 32, s1
	s_sub_i32 s0, 32, s0
	v_cndmask_b32_e64 v3, -1, 0x80000000, vcc_lo
	v_lshlrev_b32_e32 v1, s0, v1
	v_xor_b32_e32 v2, v3, v2
	s_delay_alu instid0(VALU_DEP_2) | instskip(NEXT) | instid1(VALU_DEP_2)
	v_lshrrev_b32_e32 v1, s1, v1
	v_cmp_ne_u32_e32 vcc_lo, 0x7fffffff, v2
	s_delay_alu instid0(VALU_DEP_2) | instskip(NEXT) | instid1(VALU_DEP_1)
	v_cndmask_b32_e64 v1, v1, 0, s2
	v_lshlrev_b32_e32 v4, 9, v1
	v_lshrrev_b32_e32 v1, 3, v1
	s_delay_alu instid0(VALU_DEP_2) | instskip(NEXT) | instid1(VALU_DEP_1)
	v_and_or_b32 v3, 0xe00, v4, v0
	v_dual_cndmask_b32 v2, 0x80000000, v2 :: v_dual_lshlrev_b32 v3, 1, v3
	s_delay_alu instid0(VALU_DEP_1) | instskip(NEXT) | instid1(VALU_DEP_2)
	v_lshlrev_b32_e32 v2, s0, v2
	v_add_lshl_u32 v11, v3, v1, 1
	s_delay_alu instid0(VALU_DEP_2) | instskip(SKIP_2) | instid1(VALU_DEP_1)
	v_lshrrev_b32_e32 v1, s1, v2
	ds_load_u16 v10, v11
	v_cndmask_b32_e64 v1, v1, 0, s2
	v_lshlrev_b32_e32 v2, 9, v1
	v_lshrrev_b32_e32 v1, 3, v1
	s_delay_alu instid0(VALU_DEP_2) | instskip(NEXT) | instid1(VALU_DEP_1)
	v_and_or_b32 v2, 0xe00, v2, v0
	v_lshlrev_b32_e32 v2, 1, v2
	s_waitcnt lgkmcnt(0)
	v_add_nc_u16 v3, v10, 1
	s_delay_alu instid0(VALU_DEP_2)
	v_add_lshl_u32 v12, v2, v1, 1
	ds_store_b16 v11, v3
	ds_load_u16 v13, v12
	s_waitcnt lgkmcnt(0)
	v_add_nc_u16 v1, v13, 1
	ds_store_b16 v12, v1
	s_waitcnt lgkmcnt(0)
	s_barrier
	buffer_gl0_inv
	ds_load_2addr_b32 v[7:8], v14 offset1:1
	ds_load_2addr_b32 v[5:6], v14 offset0:2 offset1:3
	ds_load_2addr_b32 v[1:2], v14 offset0:4 offset1:5
	;; [unrolled: 1-line block ×3, first 2 shown]
	s_waitcnt lgkmcnt(3)
	v_add_nc_u32_e32 v15, v8, v7
	s_waitcnt lgkmcnt(2)
	s_delay_alu instid0(VALU_DEP_1) | instskip(SKIP_1) | instid1(VALU_DEP_1)
	v_add3_u32 v15, v15, v5, v6
	s_waitcnt lgkmcnt(1)
	v_add3_u32 v16, v15, v1, v2
	v_mbcnt_lo_u32_b32 v15, -1, 0
	s_waitcnt lgkmcnt(0)
	s_delay_alu instid0(VALU_DEP_2) | instskip(NEXT) | instid1(VALU_DEP_2)
	v_add3_u32 v4, v16, v3, v4
	v_and_b32_e32 v16, 15, v15
	s_delay_alu instid0(VALU_DEP_2) | instskip(NEXT) | instid1(VALU_DEP_2)
	v_mov_b32_dpp v17, v4 row_shr:1 row_mask:0xf bank_mask:0xf
	v_cmp_eq_u32_e32 vcc_lo, 0, v16
	v_cmp_lt_u32_e64 s0, 1, v16
	v_cmp_lt_u32_e64 s1, 3, v16
	;; [unrolled: 1-line block ×3, first 2 shown]
	v_cndmask_b32_e64 v17, v17, 0, vcc_lo
	s_delay_alu instid0(VALU_DEP_1) | instskip(NEXT) | instid1(VALU_DEP_1)
	v_add_nc_u32_e32 v4, v17, v4
	v_mov_b32_dpp v17, v4 row_shr:2 row_mask:0xf bank_mask:0xf
	s_delay_alu instid0(VALU_DEP_1) | instskip(NEXT) | instid1(VALU_DEP_1)
	v_cndmask_b32_e64 v17, 0, v17, s0
	v_add_nc_u32_e32 v4, v4, v17
	s_delay_alu instid0(VALU_DEP_1) | instskip(NEXT) | instid1(VALU_DEP_1)
	v_mov_b32_dpp v17, v4 row_shr:4 row_mask:0xf bank_mask:0xf
	v_cndmask_b32_e64 v17, 0, v17, s1
	s_delay_alu instid0(VALU_DEP_1) | instskip(NEXT) | instid1(VALU_DEP_1)
	v_add_nc_u32_e32 v4, v4, v17
	v_mov_b32_dpp v17, v4 row_shr:8 row_mask:0xf bank_mask:0xf
	s_delay_alu instid0(VALU_DEP_1) | instskip(SKIP_1) | instid1(VALU_DEP_2)
	v_cndmask_b32_e64 v16, 0, v17, s2
	v_bfe_i32 v17, v15, 4, 1
	v_add_nc_u32_e32 v4, v4, v16
	ds_swizzle_b32 v16, v4 offset:swizzle(BROADCAST,32,15)
	s_waitcnt lgkmcnt(0)
	v_and_b32_e32 v16, v17, v16
	v_lshrrev_b32_e32 v17, 5, v0
	s_delay_alu instid0(VALU_DEP_2) | instskip(NEXT) | instid1(VALU_DEP_2)
	v_add_nc_u32_e32 v4, v4, v16
	v_lshlrev_b32_e32 v16, 2, v17
	v_cmpx_eq_u32_e64 v18, v0
	s_cbranch_execz .LBB36_4
; %bb.3:
	ds_store_b32 v16, v4 offset:16384
.LBB36_4:
	s_or_b32 exec_lo, exec_lo, s4
	s_delay_alu instid0(SALU_CYCLE_1)
	s_mov_b32 s4, exec_lo
	s_waitcnt lgkmcnt(0)
	s_barrier
	buffer_gl0_inv
	v_cmpx_gt_u32_e32 16, v0
	s_cbranch_execz .LBB36_6
; %bb.5:
	v_lshlrev_b32_e32 v17, 2, v0
	ds_load_b32 v18, v17 offset:16384
	s_waitcnt lgkmcnt(0)
	v_mov_b32_dpp v19, v18 row_shr:1 row_mask:0xf bank_mask:0xf
	s_delay_alu instid0(VALU_DEP_1) | instskip(NEXT) | instid1(VALU_DEP_1)
	v_cndmask_b32_e64 v19, v19, 0, vcc_lo
	v_add_nc_u32_e32 v18, v19, v18
	s_delay_alu instid0(VALU_DEP_1) | instskip(NEXT) | instid1(VALU_DEP_1)
	v_mov_b32_dpp v19, v18 row_shr:2 row_mask:0xf bank_mask:0xf
	v_cndmask_b32_e64 v19, 0, v19, s0
	s_delay_alu instid0(VALU_DEP_1) | instskip(NEXT) | instid1(VALU_DEP_1)
	v_add_nc_u32_e32 v18, v18, v19
	v_mov_b32_dpp v19, v18 row_shr:4 row_mask:0xf bank_mask:0xf
	s_delay_alu instid0(VALU_DEP_1) | instskip(NEXT) | instid1(VALU_DEP_1)
	v_cndmask_b32_e64 v19, 0, v19, s1
	v_add_nc_u32_e32 v18, v18, v19
	s_delay_alu instid0(VALU_DEP_1) | instskip(NEXT) | instid1(VALU_DEP_1)
	v_mov_b32_dpp v19, v18 row_shr:8 row_mask:0xf bank_mask:0xf
	v_cndmask_b32_e64 v19, 0, v19, s2
	s_delay_alu instid0(VALU_DEP_1)
	v_add_nc_u32_e32 v18, v18, v19
	ds_store_b32 v17, v18 offset:16384
.LBB36_6:
	s_or_b32 exec_lo, exec_lo, s4
	v_cmp_lt_u32_e32 vcc_lo, 31, v0
	v_dual_mov_b32 v0, 0 :: v_dual_mov_b32 v17, 0
	s_waitcnt lgkmcnt(0)
	s_barrier
	buffer_gl0_inv
	s_and_saveexec_b32 s0, vcc_lo
	s_cbranch_execz .LBB36_8
; %bb.7:
	ds_load_b32 v17, v16 offset:16380
.LBB36_8:
	s_or_b32 exec_lo, exec_lo, s0
	v_add_nc_u32_e32 v16, -1, v15
	s_waitcnt lgkmcnt(0)
	v_add_nc_u32_e32 v4, v17, v4
	ds_load_b32 v0, v0 offset:16444
	s_add_u32 s0, s6, s8
	s_addc_u32 s1, s7, s9
	v_cmp_gt_i32_e32 vcc_lo, 0, v16
	v_cndmask_b32_e32 v16, v16, v15, vcc_lo
	v_cmp_eq_u32_e32 vcc_lo, 0, v15
	s_delay_alu instid0(VALU_DEP_2) | instskip(SKIP_3) | instid1(VALU_DEP_1)
	v_lshlrev_b32_e32 v16, 2, v16
	ds_bpermute_b32 v4, v16, v4
	s_waitcnt lgkmcnt(0)
	v_cndmask_b32_e32 v4, v4, v17, vcc_lo
	v_lshl_add_u32 v0, v0, 16, v4
	s_delay_alu instid0(VALU_DEP_1) | instskip(NEXT) | instid1(VALU_DEP_1)
	v_add_nc_u32_e32 v4, v0, v7
	v_add_nc_u32_e32 v7, v4, v8
	s_delay_alu instid0(VALU_DEP_1) | instskip(NEXT) | instid1(VALU_DEP_1)
	v_add_nc_u32_e32 v5, v7, v5
	v_add_nc_u32_e32 v6, v5, v6
	;; [unrolled: 3-line block ×3, first 2 shown]
	s_delay_alu instid0(VALU_DEP_1)
	v_add_nc_u32_e32 v3, v2, v3
	ds_store_2addr_b32 v14, v0, v4 offset1:1
	ds_store_2addr_b32 v14, v7, v5 offset0:2 offset1:3
	ds_store_2addr_b32 v14, v6, v1 offset0:4 offset1:5
	;; [unrolled: 1-line block ×3, first 2 shown]
	s_waitcnt lgkmcnt(0)
	s_barrier
	buffer_gl0_inv
	ds_load_u16 v0, v11
	ds_load_u16 v1, v12
	v_and_b32_e32 v2, 0xffff, v10
	v_and_b32_e32 v3, 0xffff, v13
	s_waitcnt lgkmcnt(1)
	s_delay_alu instid0(VALU_DEP_2) | instskip(SKIP_1) | instid1(VALU_DEP_2)
	v_add_nc_u32_e32 v0, v0, v2
	s_waitcnt lgkmcnt(0)
	v_add_nc_u32_e32 v1, v1, v3
	v_lshlrev_b32_e32 v2, 2, v9
	global_store_b64 v2, v[0:1], s[0:1]
	s_nop 0
	s_sendmsg sendmsg(MSG_DEALLOC_VGPRS)
	s_endpgm
	.section	.rodata,"a",@progbits
	.p2align	6, 0x0
	.amdhsa_kernel _Z11rank_kernelILj512ELj2ELj4ELb0EL18RadixRankAlgorithm1EfEvPKT4_Pijj
		.amdhsa_group_segment_fixed_size 16448
		.amdhsa_private_segment_fixed_size 0
		.amdhsa_kernarg_size 24
		.amdhsa_user_sgpr_count 15
		.amdhsa_user_sgpr_dispatch_ptr 0
		.amdhsa_user_sgpr_queue_ptr 0
		.amdhsa_user_sgpr_kernarg_segment_ptr 1
		.amdhsa_user_sgpr_dispatch_id 0
		.amdhsa_user_sgpr_private_segment_size 0
		.amdhsa_wavefront_size32 1
		.amdhsa_uses_dynamic_stack 0
		.amdhsa_enable_private_segment 0
		.amdhsa_system_sgpr_workgroup_id_x 1
		.amdhsa_system_sgpr_workgroup_id_y 0
		.amdhsa_system_sgpr_workgroup_id_z 0
		.amdhsa_system_sgpr_workgroup_info 0
		.amdhsa_system_vgpr_workitem_id 0
		.amdhsa_next_free_vgpr 20
		.amdhsa_next_free_sgpr 16
		.amdhsa_reserve_vcc 1
		.amdhsa_float_round_mode_32 0
		.amdhsa_float_round_mode_16_64 0
		.amdhsa_float_denorm_mode_32 3
		.amdhsa_float_denorm_mode_16_64 3
		.amdhsa_dx10_clamp 1
		.amdhsa_ieee_mode 1
		.amdhsa_fp16_overflow 0
		.amdhsa_workgroup_processor_mode 1
		.amdhsa_memory_ordered 1
		.amdhsa_forward_progress 0
		.amdhsa_shared_vgpr_count 0
		.amdhsa_exception_fp_ieee_invalid_op 0
		.amdhsa_exception_fp_denorm_src 0
		.amdhsa_exception_fp_ieee_div_zero 0
		.amdhsa_exception_fp_ieee_overflow 0
		.amdhsa_exception_fp_ieee_underflow 0
		.amdhsa_exception_fp_ieee_inexact 0
		.amdhsa_exception_int_div_zero 0
	.end_amdhsa_kernel
	.section	.text._Z11rank_kernelILj512ELj2ELj4ELb0EL18RadixRankAlgorithm1EfEvPKT4_Pijj,"axG",@progbits,_Z11rank_kernelILj512ELj2ELj4ELb0EL18RadixRankAlgorithm1EfEvPKT4_Pijj,comdat
.Lfunc_end36:
	.size	_Z11rank_kernelILj512ELj2ELj4ELb0EL18RadixRankAlgorithm1EfEvPKT4_Pijj, .Lfunc_end36-_Z11rank_kernelILj512ELj2ELj4ELb0EL18RadixRankAlgorithm1EfEvPKT4_Pijj
                                        ; -- End function
	.section	.AMDGPU.csdata,"",@progbits
; Kernel info:
; codeLenInByte = 1192
; NumSgprs: 18
; NumVgprs: 20
; ScratchSize: 0
; MemoryBound: 0
; FloatMode: 240
; IeeeMode: 1
; LDSByteSize: 16448 bytes/workgroup (compile time only)
; SGPRBlocks: 2
; VGPRBlocks: 2
; NumSGPRsForWavesPerEU: 18
; NumVGPRsForWavesPerEU: 20
; Occupancy: 16
; WaveLimiterHint : 0
; COMPUTE_PGM_RSRC2:SCRATCH_EN: 0
; COMPUTE_PGM_RSRC2:USER_SGPR: 15
; COMPUTE_PGM_RSRC2:TRAP_HANDLER: 0
; COMPUTE_PGM_RSRC2:TGID_X_EN: 1
; COMPUTE_PGM_RSRC2:TGID_Y_EN: 0
; COMPUTE_PGM_RSRC2:TGID_Z_EN: 0
; COMPUTE_PGM_RSRC2:TIDIG_COMP_CNT: 0
	.section	.text._Z11rank_kernelILj256ELj7ELj4ELb0EL18RadixRankAlgorithm1EtEvPKT4_Pijj,"axG",@progbits,_Z11rank_kernelILj256ELj7ELj4ELb0EL18RadixRankAlgorithm1EtEvPKT4_Pijj,comdat
	.protected	_Z11rank_kernelILj256ELj7ELj4ELb0EL18RadixRankAlgorithm1EtEvPKT4_Pijj ; -- Begin function _Z11rank_kernelILj256ELj7ELj4ELb0EL18RadixRankAlgorithm1EtEvPKT4_Pijj
	.globl	_Z11rank_kernelILj256ELj7ELj4ELb0EL18RadixRankAlgorithm1EtEvPKT4_Pijj
	.p2align	8
	.type	_Z11rank_kernelILj256ELj7ELj4ELb0EL18RadixRankAlgorithm1EtEvPKT4_Pijj,@function
_Z11rank_kernelILj256ELj7ELj4ELb0EL18RadixRankAlgorithm1EtEvPKT4_Pijj: ; @_Z11rank_kernelILj256ELj7ELj4ELb0EL18RadixRankAlgorithm1EtEvPKT4_Pijj
; %bb.0:
	s_load_b128 s[4:7], s[0:1], 0x0
	v_mul_u32_u24_e32 v9, 7, v0
	s_mov_b32 s3, 0
	s_mul_i32 s2, s15, 0x700
	v_dual_mov_b32 v5, 0 :: v_dual_lshlrev_b32 v6, 2, v0
	s_lshl_b64 s[8:9], s[2:3], 1
	v_lshlrev_b32_e32 v1, 1, v9
	v_or_b32_e32 v7, 0xffffff00, v0
	s_waitcnt lgkmcnt(0)
	s_add_u32 s4, s4, s8
	s_addc_u32 s5, s5, s9
	s_clause 0x1
	global_load_d16_b16 v4, v1, s[4:5] offset:12
	global_load_b96 v[1:3], v1, s[4:5]
	s_mov_b32 s4, s3
.LBB37_1:                               ; =>This Inner Loop Header: Depth=1
	v_add_nc_u32_e32 v7, 0x100, v7
	ds_store_b32 v6, v5
	v_add_nc_u32_e32 v6, 0x400, v6
	v_cmp_lt_u32_e32 vcc_lo, 0x6ff, v7
	s_or_b32 s4, vcc_lo, s4
	s_delay_alu instid0(SALU_CYCLE_1)
	s_and_not1_b32 exec_lo, exec_lo, s4
	s_cbranch_execnz .LBB37_1
; %bb.2:
	s_or_b32 exec_lo, exec_lo, s4
	s_load_b64 s[0:1], s[0:1], 0x10
	s_waitcnt vmcnt(0)
	v_and_b32_e32 v5, 0xffff, v1
	v_lshrrev_b32_e32 v1, 16, v1
	v_lshlrev_b32_e32 v24, 5, v0
	v_or_b32_e32 v28, 31, v0
	s_waitcnt lgkmcnt(0)
	s_and_b32 s1, s1, 31
	s_delay_alu instid0(SALU_CYCLE_1) | instskip(SKIP_2) | instid1(SALU_CYCLE_1)
	s_cmp_eq_u32 s1, 0
	s_cselect_b32 s4, -1, 0
	s_and_b32 s0, s0, 31
	s_add_i32 s0, s0, s1
	s_sub_i32 s1, 32, s1
	s_sub_i32 s0, 32, s0
	s_delay_alu instid0(SALU_CYCLE_1) | instskip(SKIP_1) | instid1(VALU_DEP_2)
	v_lshlrev_b32_e32 v5, s0, v5
	v_lshlrev_b32_e32 v1, s0, v1
	v_bfe_u32 v5, v5, s1, 16
	s_delay_alu instid0(VALU_DEP_2) | instskip(NEXT) | instid1(VALU_DEP_2)
	v_bfe_u32 v1, v1, s1, 16
	v_cndmask_b32_e64 v5, v5, 0, s4
	s_delay_alu instid0(VALU_DEP_2) | instskip(NEXT) | instid1(VALU_DEP_2)
	v_cndmask_b32_e64 v1, v1, 0, s4
	v_lshlrev_b32_e32 v6, 8, v5
	v_lshrrev_b32_e32 v5, 3, v5
	s_delay_alu instid0(VALU_DEP_2) | instskip(NEXT) | instid1(VALU_DEP_1)
	v_and_or_b32 v6, 0x700, v6, v0
	v_lshlrev_b32_e32 v6, 1, v6
	s_delay_alu instid0(VALU_DEP_1)
	v_add_lshl_u32 v11, v6, v5, 1
	v_lshlrev_b32_e32 v5, 8, v1
	v_and_b32_e32 v6, 0xffff, v2
	v_lshrrev_b32_e32 v1, 3, v1
	v_lshrrev_b32_e32 v2, 16, v2
	ds_load_u16 v10, v11
	v_and_or_b32 v5, 0x700, v5, v0
	v_lshlrev_b32_e32 v6, s0, v6
	v_lshlrev_b32_e32 v2, s0, v2
	s_delay_alu instid0(VALU_DEP_3) | instskip(NEXT) | instid1(VALU_DEP_1)
	v_lshlrev_b32_e32 v5, 1, v5
	v_add_lshl_u32 v13, v5, v1, 1
	s_delay_alu instid0(VALU_DEP_4) | instskip(NEXT) | instid1(VALU_DEP_1)
	v_bfe_u32 v1, v6, s1, 16
	v_cndmask_b32_e64 v1, v1, 0, s4
	s_waitcnt lgkmcnt(0)
	v_add_nc_u16 v7, v10, 1
	s_delay_alu instid0(VALU_DEP_2) | instskip(SKIP_4) | instid1(VALU_DEP_1)
	v_lshlrev_b32_e32 v5, 8, v1
	v_lshrrev_b32_e32 v1, 3, v1
	ds_store_b16 v11, v7
	ds_load_u16 v12, v13
	v_and_or_b32 v5, 0x700, v5, v0
	v_lshlrev_b32_e32 v5, 1, v5
	s_delay_alu instid0(VALU_DEP_1) | instskip(SKIP_3) | instid1(VALU_DEP_3)
	v_add_lshl_u32 v15, v5, v1, 1
	v_bfe_u32 v1, v2, s1, 16
	v_and_b32_e32 v5, 0xffff, v3
	v_lshrrev_b32_e32 v3, 16, v3
	v_cndmask_b32_e64 v1, v1, 0, s4
	s_delay_alu instid0(VALU_DEP_3) | instskip(NEXT) | instid1(VALU_DEP_3)
	v_lshlrev_b32_e32 v5, s0, v5
	v_lshlrev_b32_e32 v3, s0, v3
	s_waitcnt lgkmcnt(0)
	v_add_nc_u16 v6, v12, 1
	v_lshlrev_b32_e32 v2, 8, v1
	v_lshrrev_b32_e32 v1, 3, v1
	ds_store_b16 v13, v6
	ds_load_u16 v14, v15
	v_and_or_b32 v2, 0x700, v2, v0
	s_delay_alu instid0(VALU_DEP_1) | instskip(NEXT) | instid1(VALU_DEP_1)
	v_lshlrev_b32_e32 v2, 1, v2
	v_add_lshl_u32 v17, v2, v1, 1
	v_bfe_u32 v1, v5, s1, 16
	s_delay_alu instid0(VALU_DEP_1) | instskip(SKIP_2) | instid1(VALU_DEP_2)
	v_cndmask_b32_e64 v1, v1, 0, s4
	s_waitcnt lgkmcnt(0)
	v_add_nc_u16 v6, v14, 1
	v_lshlrev_b32_e32 v2, 8, v1
	v_lshrrev_b32_e32 v1, 3, v1
	ds_store_b16 v15, v6
	ds_load_u16 v16, v17
	v_and_or_b32 v2, 0x700, v2, v0
	s_delay_alu instid0(VALU_DEP_1) | instskip(NEXT) | instid1(VALU_DEP_1)
	v_lshlrev_b32_e32 v2, 1, v2
	v_add_lshl_u32 v19, v2, v1, 1
	v_bfe_u32 v1, v3, s1, 16
	v_and_b32_e32 v3, 0xffff, v4
	s_delay_alu instid0(VALU_DEP_2) | instskip(NEXT) | instid1(VALU_DEP_2)
	v_cndmask_b32_e64 v1, v1, 0, s4
	v_lshlrev_b32_e32 v3, s0, v3
	s_mov_b32 s0, exec_lo
	s_waitcnt lgkmcnt(0)
	v_add_nc_u16 v5, v16, 1
	v_lshlrev_b32_e32 v2, 8, v1
	v_lshrrev_b32_e32 v1, 3, v1
	ds_store_b16 v17, v5
	ds_load_u16 v18, v19
	v_and_or_b32 v2, 0x700, v2, v0
	s_delay_alu instid0(VALU_DEP_1) | instskip(NEXT) | instid1(VALU_DEP_1)
	v_lshlrev_b32_e32 v2, 1, v2
	v_add_lshl_u32 v21, v2, v1, 1
	v_bfe_u32 v1, v3, s1, 16
	s_delay_alu instid0(VALU_DEP_1) | instskip(SKIP_2) | instid1(VALU_DEP_2)
	v_cndmask_b32_e64 v1, v1, 0, s4
	s_waitcnt lgkmcnt(0)
	v_add_nc_u16 v4, v18, 1
	v_lshlrev_b32_e32 v2, 8, v1
	v_lshrrev_b32_e32 v1, 3, v1
	ds_store_b16 v19, v4
	ds_load_u16 v20, v21
	v_and_or_b32 v2, 0x700, v2, v0
	s_delay_alu instid0(VALU_DEP_1) | instskip(NEXT) | instid1(VALU_DEP_1)
	v_lshlrev_b32_e32 v2, 1, v2
	v_add_lshl_u32 v23, v2, v1, 1
	s_waitcnt lgkmcnt(0)
	v_add_nc_u16 v3, v20, 1
	ds_store_b16 v21, v3
	ds_load_u16 v22, v23
	s_waitcnt lgkmcnt(0)
	v_add_nc_u16 v1, v22, 1
	ds_store_b16 v23, v1
	s_waitcnt lgkmcnt(0)
	s_barrier
	buffer_gl0_inv
	ds_load_2addr_b32 v[7:8], v24 offset1:1
	ds_load_2addr_b32 v[5:6], v24 offset0:2 offset1:3
	ds_load_2addr_b32 v[1:2], v24 offset0:4 offset1:5
	;; [unrolled: 1-line block ×3, first 2 shown]
	s_waitcnt lgkmcnt(3)
	v_add_nc_u32_e32 v25, v8, v7
	s_waitcnt lgkmcnt(2)
	s_delay_alu instid0(VALU_DEP_1) | instskip(SKIP_1) | instid1(VALU_DEP_1)
	v_add3_u32 v25, v25, v5, v6
	s_waitcnt lgkmcnt(1)
	v_add3_u32 v26, v25, v1, v2
	v_mbcnt_lo_u32_b32 v25, -1, 0
	s_waitcnt lgkmcnt(0)
	s_delay_alu instid0(VALU_DEP_2) | instskip(NEXT) | instid1(VALU_DEP_2)
	v_add3_u32 v4, v26, v3, v4
	v_and_b32_e32 v26, 15, v25
	s_delay_alu instid0(VALU_DEP_2) | instskip(NEXT) | instid1(VALU_DEP_2)
	v_mov_b32_dpp v27, v4 row_shr:1 row_mask:0xf bank_mask:0xf
	v_cmp_ne_u32_e32 vcc_lo, 0, v26
	s_delay_alu instid0(VALU_DEP_2) | instskip(SKIP_1) | instid1(VALU_DEP_2)
	v_cndmask_b32_e32 v27, 0, v27, vcc_lo
	v_cmp_lt_u32_e32 vcc_lo, 1, v26
	v_add_nc_u32_e32 v4, v27, v4
	s_delay_alu instid0(VALU_DEP_1) | instskip(NEXT) | instid1(VALU_DEP_1)
	v_mov_b32_dpp v27, v4 row_shr:2 row_mask:0xf bank_mask:0xf
	v_cndmask_b32_e32 v27, 0, v27, vcc_lo
	v_cmp_lt_u32_e32 vcc_lo, 3, v26
	s_delay_alu instid0(VALU_DEP_2) | instskip(NEXT) | instid1(VALU_DEP_1)
	v_add_nc_u32_e32 v4, v4, v27
	v_mov_b32_dpp v27, v4 row_shr:4 row_mask:0xf bank_mask:0xf
	s_delay_alu instid0(VALU_DEP_1) | instskip(SKIP_1) | instid1(VALU_DEP_2)
	v_cndmask_b32_e32 v27, 0, v27, vcc_lo
	v_cmp_lt_u32_e32 vcc_lo, 7, v26
	v_add_nc_u32_e32 v4, v4, v27
	s_delay_alu instid0(VALU_DEP_1) | instskip(NEXT) | instid1(VALU_DEP_1)
	v_mov_b32_dpp v27, v4 row_shr:8 row_mask:0xf bank_mask:0xf
	v_cndmask_b32_e32 v26, 0, v27, vcc_lo
	v_bfe_i32 v27, v25, 4, 1
	s_delay_alu instid0(VALU_DEP_2) | instskip(SKIP_4) | instid1(VALU_DEP_2)
	v_add_nc_u32_e32 v4, v4, v26
	ds_swizzle_b32 v26, v4 offset:swizzle(BROADCAST,32,15)
	s_waitcnt lgkmcnt(0)
	v_and_b32_e32 v26, v27, v26
	v_lshrrev_b32_e32 v27, 5, v0
	v_add_nc_u32_e32 v4, v4, v26
	s_delay_alu instid0(VALU_DEP_2)
	v_lshlrev_b32_e32 v26, 2, v27
	v_cmpx_eq_u32_e64 v28, v0
	s_cbranch_execz .LBB37_4
; %bb.3:
	ds_store_b32 v26, v4 offset:8192
.LBB37_4:
	s_or_b32 exec_lo, exec_lo, s0
	s_delay_alu instid0(SALU_CYCLE_1)
	s_mov_b32 s0, exec_lo
	s_waitcnt lgkmcnt(0)
	s_barrier
	buffer_gl0_inv
	v_cmpx_gt_u32_e32 8, v0
	s_cbranch_execz .LBB37_6
; %bb.5:
	v_and_b32_e32 v29, 7, v25
	s_delay_alu instid0(VALU_DEP_1) | instskip(SKIP_4) | instid1(VALU_DEP_1)
	v_cmp_ne_u32_e32 vcc_lo, 0, v29
	v_lshlrev_b32_e32 v27, 2, v0
	ds_load_b32 v28, v27 offset:8192
	s_waitcnt lgkmcnt(0)
	v_mov_b32_dpp v30, v28 row_shr:1 row_mask:0xf bank_mask:0xf
	v_cndmask_b32_e32 v30, 0, v30, vcc_lo
	v_cmp_lt_u32_e32 vcc_lo, 1, v29
	s_delay_alu instid0(VALU_DEP_2) | instskip(NEXT) | instid1(VALU_DEP_1)
	v_add_nc_u32_e32 v28, v30, v28
	v_mov_b32_dpp v30, v28 row_shr:2 row_mask:0xf bank_mask:0xf
	s_delay_alu instid0(VALU_DEP_1) | instskip(SKIP_1) | instid1(VALU_DEP_2)
	v_cndmask_b32_e32 v30, 0, v30, vcc_lo
	v_cmp_lt_u32_e32 vcc_lo, 3, v29
	v_add_nc_u32_e32 v28, v28, v30
	s_delay_alu instid0(VALU_DEP_1) | instskip(NEXT) | instid1(VALU_DEP_1)
	v_mov_b32_dpp v30, v28 row_shr:4 row_mask:0xf bank_mask:0xf
	v_cndmask_b32_e32 v29, 0, v30, vcc_lo
	s_delay_alu instid0(VALU_DEP_1)
	v_add_nc_u32_e32 v28, v28, v29
	ds_store_b32 v27, v28 offset:8192
.LBB37_6:
	s_or_b32 exec_lo, exec_lo, s0
	v_cmp_lt_u32_e32 vcc_lo, 31, v0
	v_dual_mov_b32 v0, 0 :: v_dual_mov_b32 v27, 0
	s_waitcnt lgkmcnt(0)
	s_barrier
	buffer_gl0_inv
	s_and_saveexec_b32 s0, vcc_lo
	s_cbranch_execz .LBB37_8
; %bb.7:
	ds_load_b32 v27, v26 offset:8188
.LBB37_8:
	s_or_b32 exec_lo, exec_lo, s0
	v_add_nc_u32_e32 v26, -1, v25
	s_waitcnt lgkmcnt(0)
	v_add_nc_u32_e32 v4, v27, v4
	ds_load_b32 v0, v0 offset:8220
	s_lshl_b64 s[0:1], s[2:3], 2
	v_lshlrev_b32_e32 v9, 2, v9
	v_cmp_gt_i32_e32 vcc_lo, 0, v26
	s_add_u32 s0, s6, s0
	s_addc_u32 s1, s7, s1
	v_cndmask_b32_e32 v26, v26, v25, vcc_lo
	v_cmp_eq_u32_e32 vcc_lo, 0, v25
	s_delay_alu instid0(VALU_DEP_2) | instskip(SKIP_3) | instid1(VALU_DEP_1)
	v_lshlrev_b32_e32 v26, 2, v26
	ds_bpermute_b32 v4, v26, v4
	s_waitcnt lgkmcnt(0)
	v_cndmask_b32_e32 v4, v4, v27, vcc_lo
	v_lshl_add_u32 v0, v0, 16, v4
	s_delay_alu instid0(VALU_DEP_1) | instskip(NEXT) | instid1(VALU_DEP_1)
	v_add_nc_u32_e32 v4, v0, v7
	v_add_nc_u32_e32 v7, v4, v8
	v_and_b32_e32 v8, 0xffff, v12
	v_and_b32_e32 v12, 0xffff, v18
	s_delay_alu instid0(VALU_DEP_3) | instskip(NEXT) | instid1(VALU_DEP_1)
	v_add_nc_u32_e32 v5, v7, v5
	v_add_nc_u32_e32 v6, v5, v6
	s_delay_alu instid0(VALU_DEP_1) | instskip(NEXT) | instid1(VALU_DEP_1)
	v_add_nc_u32_e32 v1, v6, v1
	v_add_nc_u32_e32 v2, v1, v2
	s_delay_alu instid0(VALU_DEP_1)
	v_add_nc_u32_e32 v3, v2, v3
	ds_store_2addr_b32 v24, v0, v4 offset1:1
	ds_store_2addr_b32 v24, v7, v5 offset0:2 offset1:3
	ds_store_2addr_b32 v24, v6, v1 offset0:4 offset1:5
	;; [unrolled: 1-line block ×3, first 2 shown]
	s_waitcnt lgkmcnt(0)
	s_barrier
	buffer_gl0_inv
	ds_load_u16 v0, v11
	ds_load_u16 v1, v13
	;; [unrolled: 1-line block ×7, first 2 shown]
	v_and_b32_e32 v7, 0xffff, v10
	v_and_b32_e32 v10, 0xffff, v14
	;; [unrolled: 1-line block ×5, first 2 shown]
	s_waitcnt lgkmcnt(6)
	v_add_nc_u32_e32 v0, v0, v7
	s_waitcnt lgkmcnt(5)
	v_add_nc_u32_e32 v1, v1, v8
	;; [unrolled: 2-line block ×7, first 2 shown]
	s_clause 0x1
	global_store_b128 v9, v[0:3], s[0:1]
	global_store_b96 v9, v[4:6], s[0:1] offset:16
	s_nop 0
	s_sendmsg sendmsg(MSG_DEALLOC_VGPRS)
	s_endpgm
	.section	.rodata,"a",@progbits
	.p2align	6, 0x0
	.amdhsa_kernel _Z11rank_kernelILj256ELj7ELj4ELb0EL18RadixRankAlgorithm1EtEvPKT4_Pijj
		.amdhsa_group_segment_fixed_size 8224
		.amdhsa_private_segment_fixed_size 0
		.amdhsa_kernarg_size 24
		.amdhsa_user_sgpr_count 15
		.amdhsa_user_sgpr_dispatch_ptr 0
		.amdhsa_user_sgpr_queue_ptr 0
		.amdhsa_user_sgpr_kernarg_segment_ptr 1
		.amdhsa_user_sgpr_dispatch_id 0
		.amdhsa_user_sgpr_private_segment_size 0
		.amdhsa_wavefront_size32 1
		.amdhsa_uses_dynamic_stack 0
		.amdhsa_enable_private_segment 0
		.amdhsa_system_sgpr_workgroup_id_x 1
		.amdhsa_system_sgpr_workgroup_id_y 0
		.amdhsa_system_sgpr_workgroup_id_z 0
		.amdhsa_system_sgpr_workgroup_info 0
		.amdhsa_system_vgpr_workitem_id 0
		.amdhsa_next_free_vgpr 31
		.amdhsa_next_free_sgpr 16
		.amdhsa_reserve_vcc 1
		.amdhsa_float_round_mode_32 0
		.amdhsa_float_round_mode_16_64 0
		.amdhsa_float_denorm_mode_32 3
		.amdhsa_float_denorm_mode_16_64 3
		.amdhsa_dx10_clamp 1
		.amdhsa_ieee_mode 1
		.amdhsa_fp16_overflow 0
		.amdhsa_workgroup_processor_mode 1
		.amdhsa_memory_ordered 1
		.amdhsa_forward_progress 0
		.amdhsa_shared_vgpr_count 0
		.amdhsa_exception_fp_ieee_invalid_op 0
		.amdhsa_exception_fp_denorm_src 0
		.amdhsa_exception_fp_ieee_div_zero 0
		.amdhsa_exception_fp_ieee_overflow 0
		.amdhsa_exception_fp_ieee_underflow 0
		.amdhsa_exception_fp_ieee_inexact 0
		.amdhsa_exception_int_div_zero 0
	.end_amdhsa_kernel
	.section	.text._Z11rank_kernelILj256ELj7ELj4ELb0EL18RadixRankAlgorithm1EtEvPKT4_Pijj,"axG",@progbits,_Z11rank_kernelILj256ELj7ELj4ELb0EL18RadixRankAlgorithm1EtEvPKT4_Pijj,comdat
.Lfunc_end37:
	.size	_Z11rank_kernelILj256ELj7ELj4ELb0EL18RadixRankAlgorithm1EtEvPKT4_Pijj, .Lfunc_end37-_Z11rank_kernelILj256ELj7ELj4ELb0EL18RadixRankAlgorithm1EtEvPKT4_Pijj
                                        ; -- End function
	.section	.AMDGPU.csdata,"",@progbits
; Kernel info:
; codeLenInByte = 1716
; NumSgprs: 18
; NumVgprs: 31
; ScratchSize: 0
; MemoryBound: 0
; FloatMode: 240
; IeeeMode: 1
; LDSByteSize: 8224 bytes/workgroup (compile time only)
; SGPRBlocks: 2
; VGPRBlocks: 3
; NumSGPRsForWavesPerEU: 18
; NumVGPRsForWavesPerEU: 31
; Occupancy: 16
; WaveLimiterHint : 0
; COMPUTE_PGM_RSRC2:SCRATCH_EN: 0
; COMPUTE_PGM_RSRC2:USER_SGPR: 15
; COMPUTE_PGM_RSRC2:TRAP_HANDLER: 0
; COMPUTE_PGM_RSRC2:TGID_X_EN: 1
; COMPUTE_PGM_RSRC2:TGID_Y_EN: 0
; COMPUTE_PGM_RSRC2:TGID_Z_EN: 0
; COMPUTE_PGM_RSRC2:TIDIG_COMP_CNT: 0
	.section	.text._Z11rank_kernelILj128ELj4ELj4ELb0EL18RadixRankAlgorithm1EiEvPKT4_Pijj,"axG",@progbits,_Z11rank_kernelILj128ELj4ELj4ELb0EL18RadixRankAlgorithm1EiEvPKT4_Pijj,comdat
	.protected	_Z11rank_kernelILj128ELj4ELj4ELb0EL18RadixRankAlgorithm1EiEvPKT4_Pijj ; -- Begin function _Z11rank_kernelILj128ELj4ELj4ELb0EL18RadixRankAlgorithm1EiEvPKT4_Pijj
	.globl	_Z11rank_kernelILj128ELj4ELj4ELb0EL18RadixRankAlgorithm1EiEvPKT4_Pijj
	.p2align	8
	.type	_Z11rank_kernelILj128ELj4ELj4ELb0EL18RadixRankAlgorithm1EiEvPKT4_Pijj,@function
_Z11rank_kernelILj128ELj4ELj4ELb0EL18RadixRankAlgorithm1EiEvPKT4_Pijj: ; @_Z11rank_kernelILj128ELj4ELj4ELb0EL18RadixRankAlgorithm1EiEvPKT4_Pijj
; %bb.0:
	s_load_b128 s[4:7], s[0:1], 0x0
	s_lshl_b32 s8, s15, 9
	s_mov_b32 s9, 0
	v_lshlrev_b32_e32 v1, 4, v0
	s_lshl_b64 s[2:3], s[8:9], 2
	v_lshlrev_b32_e32 v9, 2, v0
	v_mov_b32_e32 v5, 0
	v_or_b32_e32 v6, 0xffffff80, v0
	s_delay_alu instid0(VALU_DEP_3)
	v_mov_b32_e32 v7, v9
	s_waitcnt lgkmcnt(0)
	s_add_u32 s4, s4, s2
	s_addc_u32 s5, s5, s3
	global_load_b128 v[1:4], v1, s[4:5]
.LBB38_1:                               ; =>This Inner Loop Header: Depth=1
	v_add_nc_u32_e32 v6, 0x80, v6
	ds_store_b32 v7, v5
	v_add_nc_u32_e32 v7, 0x200, v7
	v_cmp_lt_u32_e32 vcc_lo, 0x37f, v6
	s_or_b32 s9, vcc_lo, s9
	s_delay_alu instid0(SALU_CYCLE_1)
	s_and_not1_b32 exec_lo, exec_lo, s9
	s_cbranch_execnz .LBB38_1
; %bb.2:
	s_or_b32 exec_lo, exec_lo, s9
	s_load_b64 s[0:1], s[0:1], 0x10
	s_waitcnt vmcnt(0)
	v_xor_b32_e32 v1, 0x80000000, v1
	v_xor_b32_e32 v2, 0x80000000, v2
	;; [unrolled: 1-line block ×3, first 2 shown]
	v_lshlrev_b32_e32 v18, 5, v0
	v_or_b32_e32 v22, 31, v0
	s_waitcnt lgkmcnt(0)
	s_and_b32 s1, s1, 31
	s_delay_alu instid0(SALU_CYCLE_1) | instskip(SKIP_2) | instid1(SALU_CYCLE_1)
	s_cmp_eq_u32 s1, 0
	s_cselect_b32 s4, -1, 0
	s_and_b32 s0, s0, 31
	s_add_i32 s0, s0, s1
	s_sub_i32 s1, 32, s1
	s_sub_i32 s0, 32, s0
	s_delay_alu instid0(SALU_CYCLE_1) | instskip(SKIP_2) | instid1(VALU_DEP_3)
	v_lshlrev_b32_e32 v1, s0, v1
	v_lshlrev_b32_e32 v2, s0, v2
	;; [unrolled: 1-line block ×3, first 2 shown]
	v_lshrrev_b32_e32 v1, s1, v1
	s_delay_alu instid0(VALU_DEP_1) | instskip(NEXT) | instid1(VALU_DEP_1)
	v_cndmask_b32_e64 v1, v1, 0, s4
	v_lshlrev_b32_e32 v5, 7, v1
	v_lshrrev_b32_e32 v1, 3, v1
	s_delay_alu instid0(VALU_DEP_2) | instskip(NEXT) | instid1(VALU_DEP_1)
	v_and_or_b32 v5, 0x380, v5, v0
	v_lshlrev_b32_e32 v5, 1, v5
	s_delay_alu instid0(VALU_DEP_1) | instskip(SKIP_3) | instid1(VALU_DEP_1)
	v_add_lshl_u32 v11, v5, v1, 1
	v_lshrrev_b32_e32 v1, s1, v2
	ds_load_u16 v10, v11
	v_cndmask_b32_e64 v1, v1, 0, s4
	v_lshlrev_b32_e32 v2, 7, v1
	v_lshrrev_b32_e32 v1, 3, v1
	s_delay_alu instid0(VALU_DEP_2) | instskip(NEXT) | instid1(VALU_DEP_1)
	v_and_or_b32 v2, 0x380, v2, v0
	v_lshlrev_b32_e32 v2, 1, v2
	s_waitcnt lgkmcnt(0)
	v_add_nc_u16 v5, v10, 1
	s_delay_alu instid0(VALU_DEP_2)
	v_add_lshl_u32 v13, v2, v1, 1
	v_lshrrev_b32_e32 v1, s1, v3
	v_xor_b32_e32 v3, 0x80000000, v4
	ds_store_b16 v11, v5
	ds_load_u16 v12, v13
	v_cndmask_b32_e64 v1, v1, 0, s4
	v_lshlrev_b32_e32 v3, s0, v3
	s_mov_b32 s0, exec_lo
	s_delay_alu instid0(VALU_DEP_2) | instskip(SKIP_1) | instid1(VALU_DEP_2)
	v_lshlrev_b32_e32 v2, 7, v1
	v_lshrrev_b32_e32 v1, 3, v1
	v_and_or_b32 v2, 0x380, v2, v0
	s_delay_alu instid0(VALU_DEP_1) | instskip(SKIP_2) | instid1(VALU_DEP_2)
	v_lshlrev_b32_e32 v2, 1, v2
	s_waitcnt lgkmcnt(0)
	v_add_nc_u16 v4, v12, 1
	v_add_lshl_u32 v15, v2, v1, 1
	v_lshrrev_b32_e32 v1, s1, v3
	ds_store_b16 v13, v4
	ds_load_u16 v14, v15
	v_cndmask_b32_e64 v1, v1, 0, s4
	s_delay_alu instid0(VALU_DEP_1) | instskip(SKIP_1) | instid1(VALU_DEP_2)
	v_lshlrev_b32_e32 v2, 7, v1
	v_lshrrev_b32_e32 v1, 3, v1
	v_and_or_b32 v2, 0x380, v2, v0
	s_delay_alu instid0(VALU_DEP_1) | instskip(SKIP_2) | instid1(VALU_DEP_2)
	v_lshlrev_b32_e32 v2, 1, v2
	s_waitcnt lgkmcnt(0)
	v_add_nc_u16 v3, v14, 1
	v_add_lshl_u32 v17, v2, v1, 1
	ds_store_b16 v15, v3
	ds_load_u16 v16, v17
	s_waitcnt lgkmcnt(0)
	v_add_nc_u16 v1, v16, 1
	ds_store_b16 v17, v1
	s_waitcnt lgkmcnt(0)
	s_barrier
	buffer_gl0_inv
	ds_load_2addr_b32 v[7:8], v18 offset1:1
	ds_load_2addr_b32 v[5:6], v18 offset0:2 offset1:3
	ds_load_2addr_b32 v[1:2], v18 offset0:4 offset1:5
	;; [unrolled: 1-line block ×3, first 2 shown]
	s_waitcnt lgkmcnt(3)
	v_add_nc_u32_e32 v19, v8, v7
	s_waitcnt lgkmcnt(2)
	s_delay_alu instid0(VALU_DEP_1) | instskip(SKIP_1) | instid1(VALU_DEP_1)
	v_add3_u32 v19, v19, v5, v6
	s_waitcnt lgkmcnt(1)
	v_add3_u32 v20, v19, v1, v2
	v_mbcnt_lo_u32_b32 v19, -1, 0
	s_waitcnt lgkmcnt(0)
	s_delay_alu instid0(VALU_DEP_2) | instskip(NEXT) | instid1(VALU_DEP_2)
	v_add3_u32 v4, v20, v3, v4
	v_and_b32_e32 v20, 15, v19
	s_delay_alu instid0(VALU_DEP_2) | instskip(NEXT) | instid1(VALU_DEP_2)
	v_mov_b32_dpp v21, v4 row_shr:1 row_mask:0xf bank_mask:0xf
	v_cmp_ne_u32_e32 vcc_lo, 0, v20
	s_delay_alu instid0(VALU_DEP_2) | instskip(SKIP_1) | instid1(VALU_DEP_2)
	v_cndmask_b32_e32 v21, 0, v21, vcc_lo
	v_cmp_lt_u32_e32 vcc_lo, 1, v20
	v_add_nc_u32_e32 v4, v21, v4
	s_delay_alu instid0(VALU_DEP_1) | instskip(NEXT) | instid1(VALU_DEP_1)
	v_mov_b32_dpp v21, v4 row_shr:2 row_mask:0xf bank_mask:0xf
	v_cndmask_b32_e32 v21, 0, v21, vcc_lo
	v_cmp_lt_u32_e32 vcc_lo, 3, v20
	s_delay_alu instid0(VALU_DEP_2) | instskip(NEXT) | instid1(VALU_DEP_1)
	v_add_nc_u32_e32 v4, v4, v21
	v_mov_b32_dpp v21, v4 row_shr:4 row_mask:0xf bank_mask:0xf
	s_delay_alu instid0(VALU_DEP_1) | instskip(SKIP_1) | instid1(VALU_DEP_2)
	v_cndmask_b32_e32 v21, 0, v21, vcc_lo
	v_cmp_lt_u32_e32 vcc_lo, 7, v20
	v_add_nc_u32_e32 v4, v4, v21
	s_delay_alu instid0(VALU_DEP_1) | instskip(NEXT) | instid1(VALU_DEP_1)
	v_mov_b32_dpp v21, v4 row_shr:8 row_mask:0xf bank_mask:0xf
	v_cndmask_b32_e32 v20, 0, v21, vcc_lo
	v_bfe_i32 v21, v19, 4, 1
	s_delay_alu instid0(VALU_DEP_2) | instskip(SKIP_4) | instid1(VALU_DEP_2)
	v_add_nc_u32_e32 v4, v4, v20
	ds_swizzle_b32 v20, v4 offset:swizzle(BROADCAST,32,15)
	s_waitcnt lgkmcnt(0)
	v_and_b32_e32 v20, v21, v20
	v_lshrrev_b32_e32 v21, 5, v0
	v_add_nc_u32_e32 v4, v4, v20
	s_delay_alu instid0(VALU_DEP_2)
	v_lshlrev_b32_e32 v20, 2, v21
	v_cmpx_eq_u32_e64 v22, v0
	s_cbranch_execz .LBB38_4
; %bb.3:
	ds_store_b32 v20, v4 offset:4096
.LBB38_4:
	s_or_b32 exec_lo, exec_lo, s0
	s_delay_alu instid0(SALU_CYCLE_1)
	s_mov_b32 s0, exec_lo
	s_waitcnt lgkmcnt(0)
	s_barrier
	buffer_gl0_inv
	v_cmpx_gt_u32_e32 4, v0
	s_cbranch_execz .LBB38_6
; %bb.5:
	v_lshlrev_b32_e32 v21, 2, v0
	ds_load_b32 v22, v21 offset:4096
	s_waitcnt lgkmcnt(0)
	v_mov_b32_dpp v24, v22 row_shr:1 row_mask:0xf bank_mask:0xf
	v_and_b32_e32 v23, 3, v19
	s_delay_alu instid0(VALU_DEP_1) | instskip(NEXT) | instid1(VALU_DEP_3)
	v_cmp_ne_u32_e32 vcc_lo, 0, v23
	v_cndmask_b32_e32 v24, 0, v24, vcc_lo
	v_cmp_lt_u32_e32 vcc_lo, 1, v23
	s_delay_alu instid0(VALU_DEP_2) | instskip(NEXT) | instid1(VALU_DEP_1)
	v_add_nc_u32_e32 v22, v24, v22
	v_mov_b32_dpp v24, v22 row_shr:2 row_mask:0xf bank_mask:0xf
	s_delay_alu instid0(VALU_DEP_1) | instskip(NEXT) | instid1(VALU_DEP_1)
	v_cndmask_b32_e32 v23, 0, v24, vcc_lo
	v_add_nc_u32_e32 v22, v22, v23
	ds_store_b32 v21, v22 offset:4096
.LBB38_6:
	s_or_b32 exec_lo, exec_lo, s0
	v_cmp_lt_u32_e32 vcc_lo, 31, v0
	v_dual_mov_b32 v0, 0 :: v_dual_mov_b32 v21, 0
	s_waitcnt lgkmcnt(0)
	s_barrier
	buffer_gl0_inv
	s_and_saveexec_b32 s0, vcc_lo
	s_cbranch_execz .LBB38_8
; %bb.7:
	ds_load_b32 v21, v20 offset:4092
.LBB38_8:
	s_or_b32 exec_lo, exec_lo, s0
	v_add_nc_u32_e32 v20, -1, v19
	s_waitcnt lgkmcnt(0)
	v_add_nc_u32_e32 v4, v21, v4
	ds_load_b32 v0, v0 offset:4108
	s_add_u32 s0, s6, s2
	s_addc_u32 s1, s7, s3
	v_cmp_gt_i32_e32 vcc_lo, 0, v20
	v_cndmask_b32_e32 v20, v20, v19, vcc_lo
	v_cmp_eq_u32_e32 vcc_lo, 0, v19
	s_delay_alu instid0(VALU_DEP_2) | instskip(SKIP_3) | instid1(VALU_DEP_1)
	v_lshlrev_b32_e32 v20, 2, v20
	ds_bpermute_b32 v4, v20, v4
	s_waitcnt lgkmcnt(0)
	v_cndmask_b32_e32 v4, v4, v21, vcc_lo
	v_lshl_add_u32 v0, v0, 16, v4
	s_delay_alu instid0(VALU_DEP_1) | instskip(NEXT) | instid1(VALU_DEP_1)
	v_add_nc_u32_e32 v4, v0, v7
	v_add_nc_u32_e32 v7, v4, v8
	s_delay_alu instid0(VALU_DEP_1) | instskip(NEXT) | instid1(VALU_DEP_1)
	v_add_nc_u32_e32 v5, v7, v5
	v_add_nc_u32_e32 v6, v5, v6
	;; [unrolled: 3-line block ×3, first 2 shown]
	s_delay_alu instid0(VALU_DEP_1)
	v_add_nc_u32_e32 v3, v2, v3
	ds_store_2addr_b32 v18, v0, v4 offset1:1
	ds_store_2addr_b32 v18, v7, v5 offset0:2 offset1:3
	ds_store_2addr_b32 v18, v6, v1 offset0:4 offset1:5
	;; [unrolled: 1-line block ×3, first 2 shown]
	s_waitcnt lgkmcnt(0)
	s_barrier
	buffer_gl0_inv
	ds_load_u16 v0, v11
	ds_load_u16 v1, v13
	;; [unrolled: 1-line block ×4, first 2 shown]
	v_and_b32_e32 v4, 0xffff, v10
	v_and_b32_e32 v5, 0xffff, v12
	;; [unrolled: 1-line block ×4, first 2 shown]
	s_waitcnt lgkmcnt(3)
	v_add_nc_u32_e32 v0, v0, v4
	s_waitcnt lgkmcnt(2)
	v_add_nc_u32_e32 v1, v1, v5
	;; [unrolled: 2-line block ×4, first 2 shown]
	v_lshlrev_b32_e32 v4, 2, v9
	global_store_b128 v4, v[0:3], s[0:1]
	s_nop 0
	s_sendmsg sendmsg(MSG_DEALLOC_VGPRS)
	s_endpgm
	.section	.rodata,"a",@progbits
	.p2align	6, 0x0
	.amdhsa_kernel _Z11rank_kernelILj128ELj4ELj4ELb0EL18RadixRankAlgorithm1EiEvPKT4_Pijj
		.amdhsa_group_segment_fixed_size 4112
		.amdhsa_private_segment_fixed_size 0
		.amdhsa_kernarg_size 24
		.amdhsa_user_sgpr_count 15
		.amdhsa_user_sgpr_dispatch_ptr 0
		.amdhsa_user_sgpr_queue_ptr 0
		.amdhsa_user_sgpr_kernarg_segment_ptr 1
		.amdhsa_user_sgpr_dispatch_id 0
		.amdhsa_user_sgpr_private_segment_size 0
		.amdhsa_wavefront_size32 1
		.amdhsa_uses_dynamic_stack 0
		.amdhsa_enable_private_segment 0
		.amdhsa_system_sgpr_workgroup_id_x 1
		.amdhsa_system_sgpr_workgroup_id_y 0
		.amdhsa_system_sgpr_workgroup_id_z 0
		.amdhsa_system_sgpr_workgroup_info 0
		.amdhsa_system_vgpr_workitem_id 0
		.amdhsa_next_free_vgpr 25
		.amdhsa_next_free_sgpr 16
		.amdhsa_reserve_vcc 1
		.amdhsa_float_round_mode_32 0
		.amdhsa_float_round_mode_16_64 0
		.amdhsa_float_denorm_mode_32 3
		.amdhsa_float_denorm_mode_16_64 3
		.amdhsa_dx10_clamp 1
		.amdhsa_ieee_mode 1
		.amdhsa_fp16_overflow 0
		.amdhsa_workgroup_processor_mode 1
		.amdhsa_memory_ordered 1
		.amdhsa_forward_progress 0
		.amdhsa_shared_vgpr_count 0
		.amdhsa_exception_fp_ieee_invalid_op 0
		.amdhsa_exception_fp_denorm_src 0
		.amdhsa_exception_fp_ieee_div_zero 0
		.amdhsa_exception_fp_ieee_overflow 0
		.amdhsa_exception_fp_ieee_underflow 0
		.amdhsa_exception_fp_ieee_inexact 0
		.amdhsa_exception_int_div_zero 0
	.end_amdhsa_kernel
	.section	.text._Z11rank_kernelILj128ELj4ELj4ELb0EL18RadixRankAlgorithm1EiEvPKT4_Pijj,"axG",@progbits,_Z11rank_kernelILj128ELj4ELj4ELb0EL18RadixRankAlgorithm1EiEvPKT4_Pijj,comdat
.Lfunc_end38:
	.size	_Z11rank_kernelILj128ELj4ELj4ELb0EL18RadixRankAlgorithm1EiEvPKT4_Pijj, .Lfunc_end38-_Z11rank_kernelILj128ELj4ELj4ELb0EL18RadixRankAlgorithm1EiEvPKT4_Pijj
                                        ; -- End function
	.section	.AMDGPU.csdata,"",@progbits
; Kernel info:
; codeLenInByte = 1288
; NumSgprs: 18
; NumVgprs: 25
; ScratchSize: 0
; MemoryBound: 0
; FloatMode: 240
; IeeeMode: 1
; LDSByteSize: 4112 bytes/workgroup (compile time only)
; SGPRBlocks: 2
; VGPRBlocks: 3
; NumSGPRsForWavesPerEU: 18
; NumVGPRsForWavesPerEU: 25
; Occupancy: 16
; WaveLimiterHint : 0
; COMPUTE_PGM_RSRC2:SCRATCH_EN: 0
; COMPUTE_PGM_RSRC2:USER_SGPR: 15
; COMPUTE_PGM_RSRC2:TRAP_HANDLER: 0
; COMPUTE_PGM_RSRC2:TGID_X_EN: 1
; COMPUTE_PGM_RSRC2:TGID_Y_EN: 0
; COMPUTE_PGM_RSRC2:TGID_Z_EN: 0
; COMPUTE_PGM_RSRC2:TIDIG_COMP_CNT: 0
	.section	.text._Z11rank_kernelILj64ELj2ELj4ELb1EL18RadixRankAlgorithm1EyEvPKT4_Pijj,"axG",@progbits,_Z11rank_kernelILj64ELj2ELj4ELb1EL18RadixRankAlgorithm1EyEvPKT4_Pijj,comdat
	.protected	_Z11rank_kernelILj64ELj2ELj4ELb1EL18RadixRankAlgorithm1EyEvPKT4_Pijj ; -- Begin function _Z11rank_kernelILj64ELj2ELj4ELb1EL18RadixRankAlgorithm1EyEvPKT4_Pijj
	.globl	_Z11rank_kernelILj64ELj2ELj4ELb1EL18RadixRankAlgorithm1EyEvPKT4_Pijj
	.p2align	8
	.type	_Z11rank_kernelILj64ELj2ELj4ELb1EL18RadixRankAlgorithm1EyEvPKT4_Pijj,@function
_Z11rank_kernelILj64ELj2ELj4ELb1EL18RadixRankAlgorithm1EyEvPKT4_Pijj: ; @_Z11rank_kernelILj64ELj2ELj4ELb1EL18RadixRankAlgorithm1EyEvPKT4_Pijj
; %bb.0:
	s_load_b128 s[4:7], s[0:1], 0x0
	s_lshl_b32 s2, s15, 7
	s_mov_b32 s3, 0
	v_lshlrev_b32_e32 v1, 4, v0
	s_lshl_b64 s[8:9], s[2:3], 3
	v_lshlrev_b32_e32 v9, 1, v0
	v_lshlrev_b32_e32 v10, 2, v0
	s_waitcnt lgkmcnt(0)
	s_add_u32 s4, s4, s8
	s_addc_u32 s5, s5, s9
	global_load_b128 v[1:4], v1, s[4:5]
	s_mov_b32 s4, exec_lo
	v_cmpx_gt_u32_e32 0x200, v0
	s_cbranch_execz .LBB39_3
; %bb.1:
	v_or_b32_e32 v5, 0xffffffc0, v0
	v_dual_mov_b32 v6, 0 :: v_dual_mov_b32 v7, v10
	s_mov_b32 s5, s3
.LBB39_2:                               ; =>This Inner Loop Header: Depth=1
	s_delay_alu instid0(VALU_DEP_2) | instskip(SKIP_4) | instid1(SALU_CYCLE_1)
	v_add_nc_u32_e32 v5, 64, v5
	ds_store_b32 v7, v6
	v_add_nc_u32_e32 v7, 0x100, v7
	v_cmp_lt_u32_e32 vcc_lo, 0x1bf, v5
	s_or_b32 s5, vcc_lo, s5
	s_and_not1_b32 exec_lo, exec_lo, s5
	s_cbranch_execnz .LBB39_2
.LBB39_3:
	s_or_b32 exec_lo, exec_lo, s4
	s_load_b64 s[0:1], s[0:1], 0x10
	v_dual_mov_b32 v5, 15 :: v_dual_mov_b32 v6, 15
	s_waitcnt lgkmcnt(0)
	s_and_b32 s1, s1, 63
	s_delay_alu instid0(SALU_CYCLE_1)
	s_cmp_lg_u32 s1, 0
	s_cselect_b32 s5, -1, 0
	s_sub_u32 s4, 64, s1
	s_and_b32 vcc_lo, exec_lo, s5
	s_cbranch_vccz .LBB39_5
; %bb.4:
	s_and_b32 s8, s0, 63
	s_delay_alu instid0(SALU_CYCLE_1) | instskip(NEXT) | instid1(SALU_CYCLE_1)
	s_add_i32 s8, s8, s1
	s_sub_i32 s8, 64, s8
	s_waitcnt vmcnt(0)
	v_lshlrev_b64 v[1:2], s8, v[1:2]
	s_delay_alu instid0(VALU_DEP_1) | instskip(NEXT) | instid1(VALU_DEP_1)
	v_lshrrev_b64 v[1:2], s4, v[1:2]
	v_xor_b32_e32 v6, 15, v1
.LBB39_5:
	s_waitcnt vmcnt(0)
	s_delay_alu instid0(VALU_DEP_1) | instskip(SKIP_2) | instid1(VALU_DEP_2)
	v_lshlrev_b32_e32 v1, 6, v6
	v_lshrrev_b32_e32 v2, 3, v6
	s_and_not1_b32 vcc_lo, exec_lo, s5
	v_and_or_b32 v1, 0x1c0, v1, v0
	s_delay_alu instid0(VALU_DEP_1) | instskip(NEXT) | instid1(VALU_DEP_1)
	v_lshlrev_b32_e32 v1, 1, v1
	v_add_lshl_u32 v12, v1, v2, 1
	ds_load_u16 v11, v12
	s_waitcnt lgkmcnt(0)
	v_add_nc_u16 v1, v11, 1
	ds_store_b16 v12, v1
	s_cbranch_vccnz .LBB39_7
; %bb.6:
	s_and_b32 s0, s0, 63
	s_delay_alu instid0(SALU_CYCLE_1) | instskip(NEXT) | instid1(SALU_CYCLE_1)
	s_add_i32 s0, s0, s1
	s_sub_i32 s0, 64, s0
	s_delay_alu instid0(SALU_CYCLE_1) | instskip(NEXT) | instid1(VALU_DEP_1)
	v_lshlrev_b64 v[1:2], s0, v[3:4]
	v_lshrrev_b64 v[1:2], s4, v[1:2]
	s_delay_alu instid0(VALU_DEP_1)
	v_xor_b32_e32 v5, 15, v1
.LBB39_7:
	s_delay_alu instid0(VALU_DEP_1)
	v_lshlrev_b32_e32 v1, 6, v5
	v_lshrrev_b32_e32 v2, 3, v5
	v_lshlrev_b32_e32 v15, 5, v0
	v_or_b32_e32 v19, 31, v0
	s_mov_b32 s0, exec_lo
	v_and_or_b32 v1, 0x1c0, v1, v0
	s_delay_alu instid0(VALU_DEP_1) | instskip(NEXT) | instid1(VALU_DEP_1)
	v_lshlrev_b32_e32 v1, 1, v1
	v_add_lshl_u32 v14, v1, v2, 1
	ds_load_u16 v13, v14
	s_waitcnt lgkmcnt(0)
	v_add_nc_u16 v1, v13, 1
	ds_store_b16 v14, v1
	s_waitcnt lgkmcnt(0)
	s_barrier
	buffer_gl0_inv
	ds_load_2addr_b32 v[7:8], v15 offset1:1
	ds_load_2addr_b32 v[5:6], v15 offset0:2 offset1:3
	ds_load_2addr_b32 v[1:2], v15 offset0:4 offset1:5
	;; [unrolled: 1-line block ×3, first 2 shown]
	s_waitcnt lgkmcnt(3)
	v_add_nc_u32_e32 v16, v8, v7
	s_waitcnt lgkmcnt(2)
	s_delay_alu instid0(VALU_DEP_1) | instskip(SKIP_1) | instid1(VALU_DEP_1)
	v_add3_u32 v16, v16, v5, v6
	s_waitcnt lgkmcnt(1)
	v_add3_u32 v17, v16, v1, v2
	v_mbcnt_lo_u32_b32 v16, -1, 0
	s_waitcnt lgkmcnt(0)
	s_delay_alu instid0(VALU_DEP_2) | instskip(NEXT) | instid1(VALU_DEP_2)
	v_add3_u32 v4, v17, v3, v4
	v_and_b32_e32 v17, 15, v16
	s_delay_alu instid0(VALU_DEP_2) | instskip(NEXT) | instid1(VALU_DEP_2)
	v_mov_b32_dpp v18, v4 row_shr:1 row_mask:0xf bank_mask:0xf
	v_cmp_ne_u32_e32 vcc_lo, 0, v17
	s_delay_alu instid0(VALU_DEP_2) | instskip(SKIP_1) | instid1(VALU_DEP_2)
	v_cndmask_b32_e32 v18, 0, v18, vcc_lo
	v_cmp_lt_u32_e32 vcc_lo, 1, v17
	v_add_nc_u32_e32 v4, v18, v4
	s_delay_alu instid0(VALU_DEP_1) | instskip(NEXT) | instid1(VALU_DEP_1)
	v_mov_b32_dpp v18, v4 row_shr:2 row_mask:0xf bank_mask:0xf
	v_cndmask_b32_e32 v18, 0, v18, vcc_lo
	v_cmp_lt_u32_e32 vcc_lo, 3, v17
	s_delay_alu instid0(VALU_DEP_2) | instskip(NEXT) | instid1(VALU_DEP_1)
	v_add_nc_u32_e32 v4, v4, v18
	v_mov_b32_dpp v18, v4 row_shr:4 row_mask:0xf bank_mask:0xf
	s_delay_alu instid0(VALU_DEP_1) | instskip(SKIP_1) | instid1(VALU_DEP_2)
	v_cndmask_b32_e32 v18, 0, v18, vcc_lo
	v_cmp_lt_u32_e32 vcc_lo, 7, v17
	v_add_nc_u32_e32 v4, v4, v18
	s_delay_alu instid0(VALU_DEP_1) | instskip(NEXT) | instid1(VALU_DEP_1)
	v_mov_b32_dpp v18, v4 row_shr:8 row_mask:0xf bank_mask:0xf
	v_cndmask_b32_e32 v17, 0, v18, vcc_lo
	v_bfe_i32 v18, v16, 4, 1
	s_delay_alu instid0(VALU_DEP_2) | instskip(SKIP_4) | instid1(VALU_DEP_2)
	v_add_nc_u32_e32 v4, v4, v17
	ds_swizzle_b32 v17, v4 offset:swizzle(BROADCAST,32,15)
	s_waitcnt lgkmcnt(0)
	v_and_b32_e32 v17, v18, v17
	v_lshrrev_b32_e32 v18, 5, v0
	v_add_nc_u32_e32 v4, v4, v17
	s_delay_alu instid0(VALU_DEP_2)
	v_lshlrev_b32_e32 v17, 2, v18
	v_cmpx_eq_u32_e64 v19, v0
	s_xor_b32 s0, exec_lo, s0
	s_cbranch_execz .LBB39_9
; %bb.8:
	ds_store_b32 v17, v4 offset:2048
.LBB39_9:
	s_or_b32 exec_lo, exec_lo, s0
	s_delay_alu instid0(SALU_CYCLE_1)
	s_mov_b32 s0, exec_lo
	s_waitcnt lgkmcnt(0)
	s_barrier
	buffer_gl0_inv
	v_cmpx_gt_u32_e32 2, v0
	s_cbranch_execz .LBB39_11
; %bb.10:
	ds_load_b32 v18, v10 offset:2048
	v_bfe_i32 v19, v16, 0, 1
	s_waitcnt lgkmcnt(0)
	v_mov_b32_dpp v20, v18 row_shr:1 row_mask:0xf bank_mask:0xf
	s_delay_alu instid0(VALU_DEP_1) | instskip(NEXT) | instid1(VALU_DEP_1)
	v_and_b32_e32 v19, v19, v20
	v_add_nc_u32_e32 v18, v19, v18
	ds_store_b32 v10, v18 offset:2048
.LBB39_11:
	s_or_b32 exec_lo, exec_lo, s0
	v_cmp_lt_u32_e32 vcc_lo, 31, v0
	v_mov_b32_e32 v0, 0
	v_mov_b32_e32 v10, 0
	s_waitcnt lgkmcnt(0)
	s_barrier
	buffer_gl0_inv
	s_and_saveexec_b32 s0, vcc_lo
	s_cbranch_execz .LBB39_13
; %bb.12:
	ds_load_b32 v10, v17 offset:2044
.LBB39_13:
	s_or_b32 exec_lo, exec_lo, s0
	v_add_nc_u32_e32 v17, -1, v16
	s_waitcnt lgkmcnt(0)
	v_add_nc_u32_e32 v4, v10, v4
	ds_load_b32 v0, v0 offset:2052
	s_lshl_b64 s[0:1], s[2:3], 2
	s_delay_alu instid0(SALU_CYCLE_1) | instskip(SKIP_4) | instid1(VALU_DEP_2)
	s_add_u32 s0, s6, s0
	v_cmp_gt_i32_e32 vcc_lo, 0, v17
	s_addc_u32 s1, s7, s1
	v_cndmask_b32_e32 v17, v17, v16, vcc_lo
	v_cmp_eq_u32_e32 vcc_lo, 0, v16
	v_lshlrev_b32_e32 v17, 2, v17
	ds_bpermute_b32 v4, v17, v4
	s_waitcnt lgkmcnt(0)
	v_cndmask_b32_e32 v4, v4, v10, vcc_lo
	s_delay_alu instid0(VALU_DEP_1) | instskip(NEXT) | instid1(VALU_DEP_1)
	v_lshl_add_u32 v0, v0, 16, v4
	v_add_nc_u32_e32 v4, v0, v7
	s_delay_alu instid0(VALU_DEP_1) | instskip(NEXT) | instid1(VALU_DEP_1)
	v_add_nc_u32_e32 v7, v4, v8
	v_add_nc_u32_e32 v5, v7, v5
	s_delay_alu instid0(VALU_DEP_1) | instskip(NEXT) | instid1(VALU_DEP_1)
	v_add_nc_u32_e32 v6, v5, v6
	;; [unrolled: 3-line block ×3, first 2 shown]
	v_add_nc_u32_e32 v3, v2, v3
	ds_store_2addr_b32 v15, v0, v4 offset1:1
	ds_store_2addr_b32 v15, v7, v5 offset0:2 offset1:3
	ds_store_2addr_b32 v15, v6, v1 offset0:4 offset1:5
	;; [unrolled: 1-line block ×3, first 2 shown]
	s_waitcnt lgkmcnt(0)
	s_barrier
	buffer_gl0_inv
	ds_load_u16 v0, v12
	ds_load_u16 v1, v14
	v_and_b32_e32 v2, 0xffff, v11
	v_and_b32_e32 v3, 0xffff, v13
	s_waitcnt lgkmcnt(1)
	s_delay_alu instid0(VALU_DEP_2) | instskip(SKIP_1) | instid1(VALU_DEP_2)
	v_add_nc_u32_e32 v0, v0, v2
	s_waitcnt lgkmcnt(0)
	v_add_nc_u32_e32 v1, v1, v3
	v_lshlrev_b32_e32 v2, 2, v9
	global_store_b64 v2, v[0:1], s[0:1]
	s_nop 0
	s_sendmsg sendmsg(MSG_DEALLOC_VGPRS)
	s_endpgm
	.section	.rodata,"a",@progbits
	.p2align	6, 0x0
	.amdhsa_kernel _Z11rank_kernelILj64ELj2ELj4ELb1EL18RadixRankAlgorithm1EyEvPKT4_Pijj
		.amdhsa_group_segment_fixed_size 2064
		.amdhsa_private_segment_fixed_size 0
		.amdhsa_kernarg_size 24
		.amdhsa_user_sgpr_count 15
		.amdhsa_user_sgpr_dispatch_ptr 0
		.amdhsa_user_sgpr_queue_ptr 0
		.amdhsa_user_sgpr_kernarg_segment_ptr 1
		.amdhsa_user_sgpr_dispatch_id 0
		.amdhsa_user_sgpr_private_segment_size 0
		.amdhsa_wavefront_size32 1
		.amdhsa_uses_dynamic_stack 0
		.amdhsa_enable_private_segment 0
		.amdhsa_system_sgpr_workgroup_id_x 1
		.amdhsa_system_sgpr_workgroup_id_y 0
		.amdhsa_system_sgpr_workgroup_id_z 0
		.amdhsa_system_sgpr_workgroup_info 0
		.amdhsa_system_vgpr_workitem_id 0
		.amdhsa_next_free_vgpr 21
		.amdhsa_next_free_sgpr 16
		.amdhsa_reserve_vcc 1
		.amdhsa_float_round_mode_32 0
		.amdhsa_float_round_mode_16_64 0
		.amdhsa_float_denorm_mode_32 3
		.amdhsa_float_denorm_mode_16_64 3
		.amdhsa_dx10_clamp 1
		.amdhsa_ieee_mode 1
		.amdhsa_fp16_overflow 0
		.amdhsa_workgroup_processor_mode 1
		.amdhsa_memory_ordered 1
		.amdhsa_forward_progress 0
		.amdhsa_shared_vgpr_count 0
		.amdhsa_exception_fp_ieee_invalid_op 0
		.amdhsa_exception_fp_denorm_src 0
		.amdhsa_exception_fp_ieee_div_zero 0
		.amdhsa_exception_fp_ieee_overflow 0
		.amdhsa_exception_fp_ieee_underflow 0
		.amdhsa_exception_fp_ieee_inexact 0
		.amdhsa_exception_int_div_zero 0
	.end_amdhsa_kernel
	.section	.text._Z11rank_kernelILj64ELj2ELj4ELb1EL18RadixRankAlgorithm1EyEvPKT4_Pijj,"axG",@progbits,_Z11rank_kernelILj64ELj2ELj4ELb1EL18RadixRankAlgorithm1EyEvPKT4_Pijj,comdat
.Lfunc_end39:
	.size	_Z11rank_kernelILj64ELj2ELj4ELb1EL18RadixRankAlgorithm1EyEvPKT4_Pijj, .Lfunc_end39-_Z11rank_kernelILj64ELj2ELj4ELb1EL18RadixRankAlgorithm1EyEvPKT4_Pijj
                                        ; -- End function
	.section	.AMDGPU.csdata,"",@progbits
; Kernel info:
; codeLenInByte = 1096
; NumSgprs: 18
; NumVgprs: 21
; ScratchSize: 0
; MemoryBound: 0
; FloatMode: 240
; IeeeMode: 1
; LDSByteSize: 2064 bytes/workgroup (compile time only)
; SGPRBlocks: 2
; VGPRBlocks: 2
; NumSGPRsForWavesPerEU: 18
; NumVGPRsForWavesPerEU: 21
; Occupancy: 16
; WaveLimiterHint : 0
; COMPUTE_PGM_RSRC2:SCRATCH_EN: 0
; COMPUTE_PGM_RSRC2:USER_SGPR: 15
; COMPUTE_PGM_RSRC2:TRAP_HANDLER: 0
; COMPUTE_PGM_RSRC2:TGID_X_EN: 1
; COMPUTE_PGM_RSRC2:TGID_Y_EN: 0
; COMPUTE_PGM_RSRC2:TGID_Z_EN: 0
; COMPUTE_PGM_RSRC2:TIDIG_COMP_CNT: 0
	.section	.text._Z11rank_kernelILj255ELj1ELj4ELb0EL18RadixRankAlgorithm1EhEvPKT4_Pijj,"axG",@progbits,_Z11rank_kernelILj255ELj1ELj4ELb0EL18RadixRankAlgorithm1EhEvPKT4_Pijj,comdat
	.protected	_Z11rank_kernelILj255ELj1ELj4ELb0EL18RadixRankAlgorithm1EhEvPKT4_Pijj ; -- Begin function _Z11rank_kernelILj255ELj1ELj4ELb0EL18RadixRankAlgorithm1EhEvPKT4_Pijj
	.globl	_Z11rank_kernelILj255ELj1ELj4ELb0EL18RadixRankAlgorithm1EhEvPKT4_Pijj
	.p2align	8
	.type	_Z11rank_kernelILj255ELj1ELj4ELb0EL18RadixRankAlgorithm1EhEvPKT4_Pijj,@function
_Z11rank_kernelILj255ELj1ELj4ELb0EL18RadixRankAlgorithm1EhEvPKT4_Pijj: ; @_Z11rank_kernelILj255ELj1ELj4ELb0EL18RadixRankAlgorithm1EhEvPKT4_Pijj
; %bb.0:
	s_load_b128 s[4:7], s[0:1], 0x0
	s_mul_i32 s2, s15, 0xff
	v_dual_mov_b32 v2, 0 :: v_dual_lshlrev_b32 v3, 2, v0
	v_add_nc_u32_e32 v4, 0xffffff01, v0
	s_mov_b32 s3, 0
	s_waitcnt lgkmcnt(0)
	s_add_u32 s4, s4, s2
	s_addc_u32 s5, s5, 0
	global_load_u8 v1, v0, s[4:5]
	s_mov_b32 s4, s3
.LBB40_1:                               ; =>This Inner Loop Header: Depth=1
	v_add_nc_u32_e32 v4, 0xff, v4
	ds_store_b32 v3, v2
	v_add_nc_u32_e32 v3, 0x3fc, v3
	v_cmp_lt_u32_e32 vcc_lo, 0x6f8, v4
	s_or_b32 s4, vcc_lo, s4
	s_delay_alu instid0(SALU_CYCLE_1)
	s_and_not1_b32 exec_lo, exec_lo, s4
	s_cbranch_execnz .LBB40_1
; %bb.2:
	s_or_b32 exec_lo, exec_lo, s4
	s_load_b64 s[0:1], s[0:1], 0x10
	s_waitcnt vmcnt(0)
	v_and_b32_e32 v1, 0xff, v1
	v_lshlrev_b32_e32 v11, 5, v0
	s_waitcnt lgkmcnt(0)
	s_and_b32 s1, s1, 31
	s_and_b32 s0, s0, 31
	s_delay_alu instid0(SALU_CYCLE_1) | instskip(NEXT) | instid1(SALU_CYCLE_1)
	s_add_i32 s0, s0, s1
	s_sub_i32 s0, 32, s0
	s_delay_alu instid0(SALU_CYCLE_1) | instskip(SKIP_3) | instid1(VALU_DEP_1)
	v_lshlrev_b32_e32 v1, s0, v1
	s_sub_i32 s0, 32, s1
	s_cmp_lg_u32 s1, 0
	s_cselect_b32 vcc_lo, -1, 0
	v_bfe_u32 v1, v1, s0, 8
	s_delay_alu instid0(VALU_DEP_1) | instskip(NEXT) | instid1(VALU_DEP_1)
	v_cndmask_b32_e32 v1, 0, v1, vcc_lo
	v_and_b32_e32 v2, 7, v1
	v_lshrrev_b32_e32 v1, 3, v1
	s_delay_alu instid0(VALU_DEP_2) | instskip(NEXT) | instid1(VALU_DEP_1)
	v_mul_u32_u24_e32 v2, 0xff, v2
	v_add_lshl_u32 v2, v2, v0, 1
	s_delay_alu instid0(VALU_DEP_1)
	v_add_lshl_u32 v9, v2, v1, 1
	ds_load_u16 v10, v9
	s_waitcnt lgkmcnt(0)
	v_add_nc_u16 v1, v10, 1
	ds_store_b16 v9, v1
	s_waitcnt lgkmcnt(0)
	s_barrier
	buffer_gl0_inv
	ds_load_2addr_b32 v[7:8], v11 offset1:1
	ds_load_2addr_b32 v[5:6], v11 offset0:2 offset1:3
	ds_load_2addr_b32 v[1:2], v11 offset0:4 offset1:5
	;; [unrolled: 1-line block ×3, first 2 shown]
	s_waitcnt lgkmcnt(3)
	v_add_nc_u32_e32 v12, v8, v7
	s_waitcnt lgkmcnt(2)
	s_delay_alu instid0(VALU_DEP_1) | instskip(SKIP_1) | instid1(VALU_DEP_1)
	v_add3_u32 v12, v12, v5, v6
	s_waitcnt lgkmcnt(1)
	v_add3_u32 v13, v12, v1, v2
	v_mbcnt_lo_u32_b32 v12, -1, 0
	s_waitcnt lgkmcnt(0)
	s_delay_alu instid0(VALU_DEP_2) | instskip(NEXT) | instid1(VALU_DEP_2)
	v_add3_u32 v4, v13, v3, v4
	v_and_b32_e32 v13, 15, v12
	v_bfe_i32 v15, v12, 4, 1
	s_delay_alu instid0(VALU_DEP_3) | instskip(NEXT) | instid1(VALU_DEP_3)
	v_mov_b32_dpp v14, v4 row_shr:1 row_mask:0xf bank_mask:0xf
	v_cmp_ne_u32_e32 vcc_lo, 0, v13
	s_delay_alu instid0(VALU_DEP_2) | instskip(SKIP_1) | instid1(VALU_DEP_2)
	v_cndmask_b32_e32 v14, 0, v14, vcc_lo
	v_cmp_lt_u32_e32 vcc_lo, 1, v13
	v_add_nc_u32_e32 v4, v14, v4
	s_delay_alu instid0(VALU_DEP_1) | instskip(NEXT) | instid1(VALU_DEP_1)
	v_mov_b32_dpp v14, v4 row_shr:2 row_mask:0xf bank_mask:0xf
	v_cndmask_b32_e32 v14, 0, v14, vcc_lo
	v_cmp_lt_u32_e32 vcc_lo, 3, v13
	s_delay_alu instid0(VALU_DEP_2) | instskip(NEXT) | instid1(VALU_DEP_1)
	v_add_nc_u32_e32 v4, v4, v14
	v_mov_b32_dpp v14, v4 row_shr:4 row_mask:0xf bank_mask:0xf
	s_delay_alu instid0(VALU_DEP_1) | instskip(SKIP_1) | instid1(VALU_DEP_2)
	v_cndmask_b32_e32 v14, 0, v14, vcc_lo
	v_cmp_lt_u32_e32 vcc_lo, 7, v13
	v_add_nc_u32_e32 v4, v4, v14
	s_delay_alu instid0(VALU_DEP_1) | instskip(NEXT) | instid1(VALU_DEP_1)
	v_mov_b32_dpp v14, v4 row_shr:8 row_mask:0xf bank_mask:0xf
	v_dual_cndmask_b32 v13, 0, v14 :: v_dual_and_b32 v14, 0xe0, v0
	s_delay_alu instid0(VALU_DEP_1) | instskip(NEXT) | instid1(VALU_DEP_2)
	v_add_nc_u32_e32 v4, v4, v13
	v_min_u32_e32 v14, 0xdf, v14
	ds_swizzle_b32 v13, v4 offset:swizzle(BROADCAST,32,15)
	v_add_nc_u32_e32 v14, 31, v14
	s_delay_alu instid0(VALU_DEP_1) | instskip(SKIP_3) | instid1(VALU_DEP_2)
	v_cmp_eq_u32_e32 vcc_lo, v14, v0
	s_waitcnt lgkmcnt(0)
	v_and_b32_e32 v13, v15, v13
	v_lshrrev_b32_e32 v15, 5, v0
	v_add_nc_u32_e32 v13, v4, v13
	s_delay_alu instid0(VALU_DEP_2)
	v_lshlrev_b32_e32 v14, 2, v15
	s_and_saveexec_b32 s0, vcc_lo
	s_cbranch_execz .LBB40_4
; %bb.3:
	ds_store_b32 v14, v13 offset:8160
.LBB40_4:
	s_or_b32 exec_lo, exec_lo, s0
	v_lshlrev_b32_e32 v4, 2, v0
	s_mov_b32 s0, exec_lo
	s_waitcnt lgkmcnt(0)
	s_barrier
	buffer_gl0_inv
	v_cmpx_gt_u32_e32 8, v0
	s_cbranch_execz .LBB40_6
; %bb.5:
	ds_load_b32 v15, v4 offset:8160
	s_waitcnt lgkmcnt(0)
	v_mov_b32_dpp v17, v15 row_shr:1 row_mask:0xf bank_mask:0xf
	v_and_b32_e32 v16, 7, v12
	s_delay_alu instid0(VALU_DEP_1) | instskip(NEXT) | instid1(VALU_DEP_3)
	v_cmp_ne_u32_e32 vcc_lo, 0, v16
	v_cndmask_b32_e32 v17, 0, v17, vcc_lo
	v_cmp_lt_u32_e32 vcc_lo, 1, v16
	s_delay_alu instid0(VALU_DEP_2) | instskip(NEXT) | instid1(VALU_DEP_1)
	v_add_nc_u32_e32 v15, v17, v15
	v_mov_b32_dpp v17, v15 row_shr:2 row_mask:0xf bank_mask:0xf
	s_delay_alu instid0(VALU_DEP_1) | instskip(SKIP_1) | instid1(VALU_DEP_2)
	v_cndmask_b32_e32 v17, 0, v17, vcc_lo
	v_cmp_lt_u32_e32 vcc_lo, 3, v16
	v_add_nc_u32_e32 v15, v15, v17
	s_delay_alu instid0(VALU_DEP_1) | instskip(NEXT) | instid1(VALU_DEP_1)
	v_mov_b32_dpp v17, v15 row_shr:4 row_mask:0xf bank_mask:0xf
	v_cndmask_b32_e32 v16, 0, v17, vcc_lo
	s_delay_alu instid0(VALU_DEP_1)
	v_add_nc_u32_e32 v15, v15, v16
	ds_store_b32 v4, v15 offset:8160
.LBB40_6:
	s_or_b32 exec_lo, exec_lo, s0
	v_cmp_lt_u32_e32 vcc_lo, 31, v0
	v_dual_mov_b32 v0, 0 :: v_dual_mov_b32 v15, 0
	s_waitcnt lgkmcnt(0)
	s_barrier
	buffer_gl0_inv
	s_and_saveexec_b32 s0, vcc_lo
	s_cbranch_execz .LBB40_8
; %bb.7:
	ds_load_b32 v15, v14 offset:8156
.LBB40_8:
	s_or_b32 exec_lo, exec_lo, s0
	v_add_nc_u32_e32 v14, -1, v12
	ds_load_b32 v0, v0 offset:8188
	s_lshl_b64 s[0:1], s[2:3], 2
	s_waitcnt lgkmcnt(1)
	v_add_nc_u32_e32 v13, v15, v13
	s_add_u32 s0, s6, s0
	v_cmp_gt_i32_e32 vcc_lo, 0, v14
	s_addc_u32 s1, s7, s1
	v_cndmask_b32_e32 v14, v14, v12, vcc_lo
	v_cmp_eq_u32_e32 vcc_lo, 0, v12
	s_delay_alu instid0(VALU_DEP_2) | instskip(SKIP_3) | instid1(VALU_DEP_1)
	v_lshlrev_b32_e32 v14, 2, v14
	ds_bpermute_b32 v13, v14, v13
	s_waitcnt lgkmcnt(0)
	v_cndmask_b32_e32 v12, v13, v15, vcc_lo
	v_lshl_add_u32 v0, v0, 16, v12
	s_delay_alu instid0(VALU_DEP_1) | instskip(NEXT) | instid1(VALU_DEP_1)
	v_add_nc_u32_e32 v7, v0, v7
	v_add_nc_u32_e32 v8, v7, v8
	s_delay_alu instid0(VALU_DEP_1) | instskip(NEXT) | instid1(VALU_DEP_1)
	v_add_nc_u32_e32 v5, v8, v5
	v_add_nc_u32_e32 v6, v5, v6
	;; [unrolled: 3-line block ×3, first 2 shown]
	s_delay_alu instid0(VALU_DEP_1)
	v_add_nc_u32_e32 v3, v2, v3
	ds_store_2addr_b32 v11, v0, v7 offset1:1
	ds_store_2addr_b32 v11, v8, v5 offset0:2 offset1:3
	ds_store_2addr_b32 v11, v6, v1 offset0:4 offset1:5
	ds_store_2addr_b32 v11, v2, v3 offset0:6 offset1:7
	s_waitcnt lgkmcnt(0)
	s_barrier
	buffer_gl0_inv
	ds_load_u16 v0, v9
	v_and_b32_e32 v1, 0xffff, v10
	s_waitcnt lgkmcnt(0)
	s_delay_alu instid0(VALU_DEP_1)
	v_add_nc_u32_e32 v0, v0, v1
	global_store_b32 v4, v0, s[0:1]
	s_nop 0
	s_sendmsg sendmsg(MSG_DEALLOC_VGPRS)
	s_endpgm
	.section	.rodata,"a",@progbits
	.p2align	6, 0x0
	.amdhsa_kernel _Z11rank_kernelILj255ELj1ELj4ELb0EL18RadixRankAlgorithm1EhEvPKT4_Pijj
		.amdhsa_group_segment_fixed_size 8192
		.amdhsa_private_segment_fixed_size 0
		.amdhsa_kernarg_size 24
		.amdhsa_user_sgpr_count 15
		.amdhsa_user_sgpr_dispatch_ptr 0
		.amdhsa_user_sgpr_queue_ptr 0
		.amdhsa_user_sgpr_kernarg_segment_ptr 1
		.amdhsa_user_sgpr_dispatch_id 0
		.amdhsa_user_sgpr_private_segment_size 0
		.amdhsa_wavefront_size32 1
		.amdhsa_uses_dynamic_stack 0
		.amdhsa_enable_private_segment 0
		.amdhsa_system_sgpr_workgroup_id_x 1
		.amdhsa_system_sgpr_workgroup_id_y 0
		.amdhsa_system_sgpr_workgroup_id_z 0
		.amdhsa_system_sgpr_workgroup_info 0
		.amdhsa_system_vgpr_workitem_id 0
		.amdhsa_next_free_vgpr 18
		.amdhsa_next_free_sgpr 16
		.amdhsa_reserve_vcc 1
		.amdhsa_float_round_mode_32 0
		.amdhsa_float_round_mode_16_64 0
		.amdhsa_float_denorm_mode_32 3
		.amdhsa_float_denorm_mode_16_64 3
		.amdhsa_dx10_clamp 1
		.amdhsa_ieee_mode 1
		.amdhsa_fp16_overflow 0
		.amdhsa_workgroup_processor_mode 1
		.amdhsa_memory_ordered 1
		.amdhsa_forward_progress 0
		.amdhsa_shared_vgpr_count 0
		.amdhsa_exception_fp_ieee_invalid_op 0
		.amdhsa_exception_fp_denorm_src 0
		.amdhsa_exception_fp_ieee_div_zero 0
		.amdhsa_exception_fp_ieee_overflow 0
		.amdhsa_exception_fp_ieee_underflow 0
		.amdhsa_exception_fp_ieee_inexact 0
		.amdhsa_exception_int_div_zero 0
	.end_amdhsa_kernel
	.section	.text._Z11rank_kernelILj255ELj1ELj4ELb0EL18RadixRankAlgorithm1EhEvPKT4_Pijj,"axG",@progbits,_Z11rank_kernelILj255ELj1ELj4ELb0EL18RadixRankAlgorithm1EhEvPKT4_Pijj,comdat
.Lfunc_end40:
	.size	_Z11rank_kernelILj255ELj1ELj4ELb0EL18RadixRankAlgorithm1EhEvPKT4_Pijj, .Lfunc_end40-_Z11rank_kernelILj255ELj1ELj4ELb0EL18RadixRankAlgorithm1EhEvPKT4_Pijj
                                        ; -- End function
	.section	.AMDGPU.csdata,"",@progbits
; Kernel info:
; codeLenInByte = 976
; NumSgprs: 18
; NumVgprs: 18
; ScratchSize: 0
; MemoryBound: 0
; FloatMode: 240
; IeeeMode: 1
; LDSByteSize: 8192 bytes/workgroup (compile time only)
; SGPRBlocks: 2
; VGPRBlocks: 2
; NumSGPRsForWavesPerEU: 18
; NumVGPRsForWavesPerEU: 18
; Occupancy: 16
; WaveLimiterHint : 0
; COMPUTE_PGM_RSRC2:SCRATCH_EN: 0
; COMPUTE_PGM_RSRC2:USER_SGPR: 15
; COMPUTE_PGM_RSRC2:TRAP_HANDLER: 0
; COMPUTE_PGM_RSRC2:TGID_X_EN: 1
; COMPUTE_PGM_RSRC2:TGID_Y_EN: 0
; COMPUTE_PGM_RSRC2:TGID_Z_EN: 0
; COMPUTE_PGM_RSRC2:TIDIG_COMP_CNT: 0
	.section	.text._Z11rank_kernelILj162ELj1ELj4ELb0EL18RadixRankAlgorithm1EjEvPKT4_Pijj,"axG",@progbits,_Z11rank_kernelILj162ELj1ELj4ELb0EL18RadixRankAlgorithm1EjEvPKT4_Pijj,comdat
	.protected	_Z11rank_kernelILj162ELj1ELj4ELb0EL18RadixRankAlgorithm1EjEvPKT4_Pijj ; -- Begin function _Z11rank_kernelILj162ELj1ELj4ELb0EL18RadixRankAlgorithm1EjEvPKT4_Pijj
	.globl	_Z11rank_kernelILj162ELj1ELj4ELb0EL18RadixRankAlgorithm1EjEvPKT4_Pijj
	.p2align	8
	.type	_Z11rank_kernelILj162ELj1ELj4ELb0EL18RadixRankAlgorithm1EjEvPKT4_Pijj,@function
_Z11rank_kernelILj162ELj1ELj4ELb0EL18RadixRankAlgorithm1EjEvPKT4_Pijj: ; @_Z11rank_kernelILj162ELj1ELj4ELb0EL18RadixRankAlgorithm1EjEvPKT4_Pijj
; %bb.0:
	s_load_b128 s[4:7], s[0:1], 0x0
	s_mul_i32 s8, s15, 0xa2
	s_mov_b32 s9, 0
	v_dual_mov_b32 v3, 0 :: v_dual_lshlrev_b32 v2, 2, v0
	s_lshl_b64 s[2:3], s[8:9], 2
	v_add_nc_u32_e32 v4, 0xffffff5e, v0
	s_waitcnt lgkmcnt(0)
	s_add_u32 s4, s4, s2
	s_addc_u32 s5, s5, s3
	global_load_b32 v1, v2, s[4:5]
.LBB41_1:                               ; =>This Inner Loop Header: Depth=1
	v_add_nc_u32_e32 v4, 0xa2, v4
	ds_store_b32 v2, v3
	v_add_nc_u32_e32 v2, 0x288, v2
	v_cmp_lt_u32_e32 vcc_lo, 0x46d, v4
	s_or_b32 s9, vcc_lo, s9
	s_delay_alu instid0(SALU_CYCLE_1)
	s_and_not1_b32 exec_lo, exec_lo, s9
	s_cbranch_execnz .LBB41_1
; %bb.2:
	s_or_b32 exec_lo, exec_lo, s9
	s_load_b64 s[0:1], s[0:1], 0x10
	v_lshlrev_b32_e32 v11, 5, v0
	s_waitcnt lgkmcnt(0)
	s_and_b32 s1, s1, 31
	s_and_b32 s0, s0, 31
	s_delay_alu instid0(SALU_CYCLE_1) | instskip(NEXT) | instid1(SALU_CYCLE_1)
	s_add_i32 s0, s0, s1
	s_sub_i32 s0, 32, s0
	s_waitcnt vmcnt(0)
	v_lshlrev_b32_e32 v1, s0, v1
	s_sub_i32 s0, 32, s1
	s_cmp_lg_u32 s1, 0
	s_cselect_b32 vcc_lo, -1, 0
	s_delay_alu instid0(VALU_DEP_1) | instskip(NEXT) | instid1(VALU_DEP_1)
	v_lshrrev_b32_e32 v1, s0, v1
	v_cndmask_b32_e32 v1, 0, v1, vcc_lo
	s_delay_alu instid0(VALU_DEP_1) | instskip(SKIP_1) | instid1(VALU_DEP_2)
	v_and_b32_e32 v2, 7, v1
	v_lshrrev_b32_e32 v1, 3, v1
	v_mul_u32_u24_e32 v2, 0xa2, v2
	s_delay_alu instid0(VALU_DEP_1) | instskip(NEXT) | instid1(VALU_DEP_1)
	v_add_lshl_u32 v2, v2, v0, 1
	v_add_lshl_u32 v9, v2, v1, 1
	ds_load_u16 v10, v9
	s_waitcnt lgkmcnt(0)
	v_add_nc_u16 v1, v10, 1
	ds_store_b16 v9, v1
	s_waitcnt lgkmcnt(0)
	s_barrier
	buffer_gl0_inv
	ds_load_2addr_b32 v[7:8], v11 offset1:1
	ds_load_2addr_b32 v[5:6], v11 offset0:2 offset1:3
	ds_load_2addr_b32 v[1:2], v11 offset0:4 offset1:5
	;; [unrolled: 1-line block ×3, first 2 shown]
	s_waitcnt lgkmcnt(3)
	v_add_nc_u32_e32 v12, v8, v7
	s_waitcnt lgkmcnt(2)
	s_delay_alu instid0(VALU_DEP_1) | instskip(SKIP_1) | instid1(VALU_DEP_1)
	v_add3_u32 v12, v12, v5, v6
	s_waitcnt lgkmcnt(1)
	v_add3_u32 v13, v12, v1, v2
	v_mbcnt_lo_u32_b32 v12, -1, 0
	s_waitcnt lgkmcnt(0)
	s_delay_alu instid0(VALU_DEP_2) | instskip(NEXT) | instid1(VALU_DEP_2)
	v_add3_u32 v4, v13, v3, v4
	v_and_b32_e32 v13, 15, v12
	v_bfe_i32 v15, v12, 4, 1
	s_delay_alu instid0(VALU_DEP_3) | instskip(NEXT) | instid1(VALU_DEP_3)
	v_mov_b32_dpp v14, v4 row_shr:1 row_mask:0xf bank_mask:0xf
	v_cmp_ne_u32_e32 vcc_lo, 0, v13
	s_delay_alu instid0(VALU_DEP_2) | instskip(SKIP_1) | instid1(VALU_DEP_2)
	v_cndmask_b32_e32 v14, 0, v14, vcc_lo
	v_cmp_lt_u32_e32 vcc_lo, 1, v13
	v_add_nc_u32_e32 v4, v14, v4
	s_delay_alu instid0(VALU_DEP_1) | instskip(NEXT) | instid1(VALU_DEP_1)
	v_mov_b32_dpp v14, v4 row_shr:2 row_mask:0xf bank_mask:0xf
	v_cndmask_b32_e32 v14, 0, v14, vcc_lo
	v_cmp_lt_u32_e32 vcc_lo, 3, v13
	s_delay_alu instid0(VALU_DEP_2) | instskip(NEXT) | instid1(VALU_DEP_1)
	v_add_nc_u32_e32 v4, v4, v14
	v_mov_b32_dpp v14, v4 row_shr:4 row_mask:0xf bank_mask:0xf
	s_delay_alu instid0(VALU_DEP_1) | instskip(SKIP_1) | instid1(VALU_DEP_2)
	v_cndmask_b32_e32 v14, 0, v14, vcc_lo
	v_cmp_lt_u32_e32 vcc_lo, 7, v13
	v_add_nc_u32_e32 v4, v4, v14
	s_delay_alu instid0(VALU_DEP_1) | instskip(NEXT) | instid1(VALU_DEP_1)
	v_mov_b32_dpp v14, v4 row_shr:8 row_mask:0xf bank_mask:0xf
	v_dual_cndmask_b32 v13, 0, v14 :: v_dual_and_b32 v14, 0xe0, v0
	s_delay_alu instid0(VALU_DEP_1) | instskip(NEXT) | instid1(VALU_DEP_2)
	v_add_nc_u32_e32 v4, v4, v13
	v_min_u32_e32 v14, 0x82, v14
	ds_swizzle_b32 v13, v4 offset:swizzle(BROADCAST,32,15)
	v_add_nc_u32_e32 v14, 31, v14
	s_delay_alu instid0(VALU_DEP_1) | instskip(SKIP_3) | instid1(VALU_DEP_2)
	v_cmp_eq_u32_e32 vcc_lo, v14, v0
	s_waitcnt lgkmcnt(0)
	v_and_b32_e32 v13, v15, v13
	v_lshrrev_b32_e32 v15, 5, v0
	v_add_nc_u32_e32 v13, v4, v13
	s_delay_alu instid0(VALU_DEP_2)
	v_lshlrev_b32_e32 v14, 2, v15
	s_and_saveexec_b32 s0, vcc_lo
	s_cbranch_execz .LBB41_4
; %bb.3:
	ds_store_b32 v14, v13 offset:5184
.LBB41_4:
	s_or_b32 exec_lo, exec_lo, s0
	v_lshlrev_b32_e32 v4, 2, v0
	s_mov_b32 s0, exec_lo
	s_waitcnt lgkmcnt(0)
	s_barrier
	buffer_gl0_inv
	v_cmpx_gt_u32_e32 6, v0
	s_cbranch_execz .LBB41_6
; %bb.5:
	ds_load_b32 v15, v4 offset:5184
	s_waitcnt lgkmcnt(0)
	v_mov_b32_dpp v17, v15 row_shr:1 row_mask:0xf bank_mask:0xf
	v_and_b32_e32 v16, 7, v12
	s_delay_alu instid0(VALU_DEP_1) | instskip(NEXT) | instid1(VALU_DEP_3)
	v_cmp_ne_u32_e32 vcc_lo, 0, v16
	v_cndmask_b32_e32 v17, 0, v17, vcc_lo
	v_cmp_lt_u32_e32 vcc_lo, 1, v16
	s_delay_alu instid0(VALU_DEP_2) | instskip(NEXT) | instid1(VALU_DEP_1)
	v_add_nc_u32_e32 v15, v17, v15
	v_mov_b32_dpp v17, v15 row_shr:2 row_mask:0xf bank_mask:0xf
	s_delay_alu instid0(VALU_DEP_1) | instskip(SKIP_1) | instid1(VALU_DEP_2)
	v_cndmask_b32_e32 v17, 0, v17, vcc_lo
	v_cmp_lt_u32_e32 vcc_lo, 3, v16
	v_add_nc_u32_e32 v15, v15, v17
	s_delay_alu instid0(VALU_DEP_1) | instskip(NEXT) | instid1(VALU_DEP_1)
	v_mov_b32_dpp v17, v15 row_shr:4 row_mask:0xf bank_mask:0xf
	v_cndmask_b32_e32 v16, 0, v17, vcc_lo
	s_delay_alu instid0(VALU_DEP_1)
	v_add_nc_u32_e32 v15, v15, v16
	ds_store_b32 v4, v15 offset:5184
.LBB41_6:
	s_or_b32 exec_lo, exec_lo, s0
	v_cmp_lt_u32_e32 vcc_lo, 31, v0
	v_dual_mov_b32 v0, 0 :: v_dual_mov_b32 v15, 0
	s_waitcnt lgkmcnt(0)
	s_barrier
	buffer_gl0_inv
	s_and_saveexec_b32 s0, vcc_lo
	s_cbranch_execz .LBB41_8
; %bb.7:
	ds_load_b32 v15, v14 offset:5180
.LBB41_8:
	s_or_b32 exec_lo, exec_lo, s0
	v_add_nc_u32_e32 v14, -1, v12
	ds_load_b32 v0, v0 offset:5204
	s_add_u32 s0, s6, s2
	s_addc_u32 s1, s7, s3
	s_waitcnt lgkmcnt(1)
	v_add_nc_u32_e32 v13, v15, v13
	v_cmp_gt_i32_e32 vcc_lo, 0, v14
	v_cndmask_b32_e32 v14, v14, v12, vcc_lo
	v_cmp_eq_u32_e32 vcc_lo, 0, v12
	s_delay_alu instid0(VALU_DEP_2) | instskip(SKIP_3) | instid1(VALU_DEP_1)
	v_lshlrev_b32_e32 v14, 2, v14
	ds_bpermute_b32 v13, v14, v13
	s_waitcnt lgkmcnt(0)
	v_cndmask_b32_e32 v12, v13, v15, vcc_lo
	v_lshl_add_u32 v0, v0, 16, v12
	s_delay_alu instid0(VALU_DEP_1) | instskip(NEXT) | instid1(VALU_DEP_1)
	v_add_nc_u32_e32 v7, v0, v7
	v_add_nc_u32_e32 v8, v7, v8
	s_delay_alu instid0(VALU_DEP_1) | instskip(NEXT) | instid1(VALU_DEP_1)
	v_add_nc_u32_e32 v5, v8, v5
	v_add_nc_u32_e32 v6, v5, v6
	;; [unrolled: 3-line block ×3, first 2 shown]
	s_delay_alu instid0(VALU_DEP_1)
	v_add_nc_u32_e32 v3, v2, v3
	ds_store_2addr_b32 v11, v0, v7 offset1:1
	ds_store_2addr_b32 v11, v8, v5 offset0:2 offset1:3
	ds_store_2addr_b32 v11, v6, v1 offset0:4 offset1:5
	;; [unrolled: 1-line block ×3, first 2 shown]
	s_waitcnt lgkmcnt(0)
	s_barrier
	buffer_gl0_inv
	ds_load_u16 v0, v9
	v_and_b32_e32 v1, 0xffff, v10
	s_waitcnt lgkmcnt(0)
	s_delay_alu instid0(VALU_DEP_1)
	v_add_nc_u32_e32 v0, v0, v1
	global_store_b32 v4, v0, s[0:1]
	s_nop 0
	s_sendmsg sendmsg(MSG_DEALLOC_VGPRS)
	s_endpgm
	.section	.rodata,"a",@progbits
	.p2align	6, 0x0
	.amdhsa_kernel _Z11rank_kernelILj162ELj1ELj4ELb0EL18RadixRankAlgorithm1EjEvPKT4_Pijj
		.amdhsa_group_segment_fixed_size 5216
		.amdhsa_private_segment_fixed_size 0
		.amdhsa_kernarg_size 24
		.amdhsa_user_sgpr_count 15
		.amdhsa_user_sgpr_dispatch_ptr 0
		.amdhsa_user_sgpr_queue_ptr 0
		.amdhsa_user_sgpr_kernarg_segment_ptr 1
		.amdhsa_user_sgpr_dispatch_id 0
		.amdhsa_user_sgpr_private_segment_size 0
		.amdhsa_wavefront_size32 1
		.amdhsa_uses_dynamic_stack 0
		.amdhsa_enable_private_segment 0
		.amdhsa_system_sgpr_workgroup_id_x 1
		.amdhsa_system_sgpr_workgroup_id_y 0
		.amdhsa_system_sgpr_workgroup_id_z 0
		.amdhsa_system_sgpr_workgroup_info 0
		.amdhsa_system_vgpr_workitem_id 0
		.amdhsa_next_free_vgpr 18
		.amdhsa_next_free_sgpr 16
		.amdhsa_reserve_vcc 1
		.amdhsa_float_round_mode_32 0
		.amdhsa_float_round_mode_16_64 0
		.amdhsa_float_denorm_mode_32 3
		.amdhsa_float_denorm_mode_16_64 3
		.amdhsa_dx10_clamp 1
		.amdhsa_ieee_mode 1
		.amdhsa_fp16_overflow 0
		.amdhsa_workgroup_processor_mode 1
		.amdhsa_memory_ordered 1
		.amdhsa_forward_progress 0
		.amdhsa_shared_vgpr_count 0
		.amdhsa_exception_fp_ieee_invalid_op 0
		.amdhsa_exception_fp_denorm_src 0
		.amdhsa_exception_fp_ieee_div_zero 0
		.amdhsa_exception_fp_ieee_overflow 0
		.amdhsa_exception_fp_ieee_underflow 0
		.amdhsa_exception_fp_ieee_inexact 0
		.amdhsa_exception_int_div_zero 0
	.end_amdhsa_kernel
	.section	.text._Z11rank_kernelILj162ELj1ELj4ELb0EL18RadixRankAlgorithm1EjEvPKT4_Pijj,"axG",@progbits,_Z11rank_kernelILj162ELj1ELj4ELb0EL18RadixRankAlgorithm1EjEvPKT4_Pijj,comdat
.Lfunc_end41:
	.size	_Z11rank_kernelILj162ELj1ELj4ELb0EL18RadixRankAlgorithm1EjEvPKT4_Pijj, .Lfunc_end41-_Z11rank_kernelILj162ELj1ELj4ELb0EL18RadixRankAlgorithm1EjEvPKT4_Pijj
                                        ; -- End function
	.section	.AMDGPU.csdata,"",@progbits
; Kernel info:
; codeLenInByte = 956
; NumSgprs: 18
; NumVgprs: 18
; ScratchSize: 0
; MemoryBound: 0
; FloatMode: 240
; IeeeMode: 1
; LDSByteSize: 5216 bytes/workgroup (compile time only)
; SGPRBlocks: 2
; VGPRBlocks: 2
; NumSGPRsForWavesPerEU: 18
; NumVGPRsForWavesPerEU: 18
; Occupancy: 15
; WaveLimiterHint : 0
; COMPUTE_PGM_RSRC2:SCRATCH_EN: 0
; COMPUTE_PGM_RSRC2:USER_SGPR: 15
; COMPUTE_PGM_RSRC2:TRAP_HANDLER: 0
; COMPUTE_PGM_RSRC2:TGID_X_EN: 1
; COMPUTE_PGM_RSRC2:TGID_Y_EN: 0
; COMPUTE_PGM_RSRC2:TGID_Z_EN: 0
; COMPUTE_PGM_RSRC2:TIDIG_COMP_CNT: 0
	.section	.text._Z11rank_kernelILj510ELj1ELj4ELb1EL18RadixRankAlgorithm1ExEvPKT4_Pijj,"axG",@progbits,_Z11rank_kernelILj510ELj1ELj4ELb1EL18RadixRankAlgorithm1ExEvPKT4_Pijj,comdat
	.protected	_Z11rank_kernelILj510ELj1ELj4ELb1EL18RadixRankAlgorithm1ExEvPKT4_Pijj ; -- Begin function _Z11rank_kernelILj510ELj1ELj4ELb1EL18RadixRankAlgorithm1ExEvPKT4_Pijj
	.globl	_Z11rank_kernelILj510ELj1ELj4ELb1EL18RadixRankAlgorithm1ExEvPKT4_Pijj
	.p2align	8
	.type	_Z11rank_kernelILj510ELj1ELj4ELb1EL18RadixRankAlgorithm1ExEvPKT4_Pijj,@function
_Z11rank_kernelILj510ELj1ELj4ELb1EL18RadixRankAlgorithm1ExEvPKT4_Pijj: ; @_Z11rank_kernelILj510ELj1ELj4ELb1EL18RadixRankAlgorithm1ExEvPKT4_Pijj
; %bb.0:
	s_load_b128 s[4:7], s[0:1], 0x0
	s_mul_i32 s8, s15, 0x1fe
	s_mov_b32 s9, 0
	v_lshlrev_b32_e32 v1, 3, v0
	s_lshl_b64 s[2:3], s[8:9], 3
	v_dual_mov_b32 v3, 0 :: v_dual_lshlrev_b32 v4, 2, v0
	v_add_nc_u32_e32 v5, 0xfffffe02, v0
	s_waitcnt lgkmcnt(0)
	s_add_u32 s2, s4, s2
	s_addc_u32 s3, s5, s3
	global_load_b64 v[1:2], v1, s[2:3]
	s_mov_b32 s2, s9
.LBB42_1:                               ; =>This Inner Loop Header: Depth=1
	v_add_nc_u32_e32 v5, 0x1fe, v5
	ds_store_b32 v4, v3
	v_add_nc_u32_e32 v4, 0x7f8, v4
	v_cmp_lt_u32_e32 vcc_lo, 0xdf1, v5
	s_or_b32 s2, vcc_lo, s2
	s_delay_alu instid0(SALU_CYCLE_1)
	s_and_not1_b32 exec_lo, exec_lo, s2
	s_cbranch_execnz .LBB42_1
; %bb.2:
	s_or_b32 exec_lo, exec_lo, s2
	s_load_b64 s[0:1], s[0:1], 0x10
	s_waitcnt lgkmcnt(0)
	s_and_b32 s1, s1, 63
	s_delay_alu instid0(SALU_CYCLE_1)
	s_cmp_eq_u32 s1, 0
	s_cbranch_scc1 .LBB42_4
; %bb.3:
	s_and_b32 s0, s0, 63
	s_waitcnt vmcnt(0)
	v_xor_b32_e32 v2, 0x80000000, v2
	s_add_i32 s0, s0, s1
	s_delay_alu instid0(SALU_CYCLE_1)
	s_sub_i32 s0, 64, s0
	s_delay_alu instid0(VALU_DEP_1) | instid1(SALU_CYCLE_1)
	v_lshlrev_b64 v[1:2], s0, v[1:2]
	s_sub_i32 s0, 64, s1
	s_delay_alu instid0(VALU_DEP_1) | instid1(SALU_CYCLE_1)
	v_lshrrev_b64 v[1:2], s0, v[1:2]
	s_delay_alu instid0(VALU_DEP_1)
	v_xor_b32_e32 v1, 15, v1
	s_branch .LBB42_5
.LBB42_4:
	s_waitcnt vmcnt(0)
	v_mov_b32_e32 v1, 15
.LBB42_5:
	s_delay_alu instid0(VALU_DEP_1) | instskip(SKIP_2) | instid1(VALU_DEP_3)
	v_and_b32_e32 v2, 7, v1
	v_lshrrev_b32_e32 v1, 3, v1
	v_lshlrev_b32_e32 v11, 5, v0
	v_mul_u32_u24_e32 v2, 0x1fe, v2
	s_delay_alu instid0(VALU_DEP_1) | instskip(NEXT) | instid1(VALU_DEP_1)
	v_add_lshl_u32 v2, v2, v0, 1
	v_add_lshl_u32 v9, v2, v1, 1
	ds_load_u16 v10, v9
	s_waitcnt lgkmcnt(0)
	v_add_nc_u16 v1, v10, 1
	ds_store_b16 v9, v1
	s_waitcnt lgkmcnt(0)
	s_barrier
	buffer_gl0_inv
	ds_load_2addr_b32 v[7:8], v11 offset1:1
	ds_load_2addr_b32 v[5:6], v11 offset0:2 offset1:3
	ds_load_2addr_b32 v[1:2], v11 offset0:4 offset1:5
	ds_load_2addr_b32 v[3:4], v11 offset0:6 offset1:7
	s_waitcnt lgkmcnt(3)
	v_add_nc_u32_e32 v12, v8, v7
	s_waitcnt lgkmcnt(2)
	s_delay_alu instid0(VALU_DEP_1) | instskip(SKIP_1) | instid1(VALU_DEP_1)
	v_add3_u32 v12, v12, v5, v6
	s_waitcnt lgkmcnt(1)
	v_add3_u32 v13, v12, v1, v2
	v_mbcnt_lo_u32_b32 v12, -1, 0
	s_waitcnt lgkmcnt(0)
	s_delay_alu instid0(VALU_DEP_2) | instskip(NEXT) | instid1(VALU_DEP_2)
	v_add3_u32 v4, v13, v3, v4
	v_and_b32_e32 v13, 15, v12
	v_bfe_i32 v15, v12, 4, 1
	s_delay_alu instid0(VALU_DEP_3) | instskip(NEXT) | instid1(VALU_DEP_3)
	v_mov_b32_dpp v14, v4 row_shr:1 row_mask:0xf bank_mask:0xf
	v_cmp_eq_u32_e32 vcc_lo, 0, v13
	v_cmp_lt_u32_e64 s0, 1, v13
	v_cmp_lt_u32_e64 s1, 3, v13
	;; [unrolled: 1-line block ×3, first 2 shown]
	v_cndmask_b32_e64 v14, v14, 0, vcc_lo
	s_delay_alu instid0(VALU_DEP_1) | instskip(NEXT) | instid1(VALU_DEP_1)
	v_add_nc_u32_e32 v4, v14, v4
	v_mov_b32_dpp v14, v4 row_shr:2 row_mask:0xf bank_mask:0xf
	s_delay_alu instid0(VALU_DEP_1) | instskip(NEXT) | instid1(VALU_DEP_1)
	v_cndmask_b32_e64 v14, 0, v14, s0
	v_add_nc_u32_e32 v4, v4, v14
	s_delay_alu instid0(VALU_DEP_1) | instskip(NEXT) | instid1(VALU_DEP_1)
	v_mov_b32_dpp v14, v4 row_shr:4 row_mask:0xf bank_mask:0xf
	v_cndmask_b32_e64 v14, 0, v14, s1
	s_delay_alu instid0(VALU_DEP_1) | instskip(NEXT) | instid1(VALU_DEP_1)
	v_add_nc_u32_e32 v4, v4, v14
	v_mov_b32_dpp v14, v4 row_shr:8 row_mask:0xf bank_mask:0xf
	s_delay_alu instid0(VALU_DEP_1) | instskip(SKIP_1) | instid1(VALU_DEP_2)
	v_cndmask_b32_e64 v13, 0, v14, s2
	v_and_b32_e32 v14, 0x1e0, v0
	v_add_nc_u32_e32 v4, v4, v13
	s_delay_alu instid0(VALU_DEP_2) | instskip(SKIP_2) | instid1(VALU_DEP_1)
	v_min_u32_e32 v14, 0x1de, v14
	ds_swizzle_b32 v13, v4 offset:swizzle(BROADCAST,32,15)
	v_add_nc_u32_e32 v14, 31, v14
	v_cmp_eq_u32_e64 s3, v14, v0
	s_waitcnt lgkmcnt(0)
	v_and_b32_e32 v13, v15, v13
	v_lshrrev_b32_e32 v15, 5, v0
	s_delay_alu instid0(VALU_DEP_2) | instskip(NEXT) | instid1(VALU_DEP_2)
	v_add_nc_u32_e32 v13, v4, v13
	v_lshlrev_b32_e32 v14, 2, v15
	s_and_saveexec_b32 s4, s3
	s_cbranch_execz .LBB42_7
; %bb.6:
	ds_store_b32 v14, v13 offset:16320
.LBB42_7:
	s_or_b32 exec_lo, exec_lo, s4
	v_lshlrev_b32_e32 v4, 2, v0
	s_mov_b32 s4, exec_lo
	s_waitcnt lgkmcnt(0)
	s_barrier
	buffer_gl0_inv
	v_cmpx_gt_u32_e32 16, v0
	s_cbranch_execz .LBB42_9
; %bb.8:
	ds_load_b32 v15, v4 offset:16320
	s_waitcnt lgkmcnt(0)
	v_mov_b32_dpp v16, v15 row_shr:1 row_mask:0xf bank_mask:0xf
	s_delay_alu instid0(VALU_DEP_1) | instskip(NEXT) | instid1(VALU_DEP_1)
	v_cndmask_b32_e64 v16, v16, 0, vcc_lo
	v_add_nc_u32_e32 v15, v16, v15
	s_delay_alu instid0(VALU_DEP_1) | instskip(NEXT) | instid1(VALU_DEP_1)
	v_mov_b32_dpp v16, v15 row_shr:2 row_mask:0xf bank_mask:0xf
	v_cndmask_b32_e64 v16, 0, v16, s0
	s_delay_alu instid0(VALU_DEP_1) | instskip(NEXT) | instid1(VALU_DEP_1)
	v_add_nc_u32_e32 v15, v15, v16
	v_mov_b32_dpp v16, v15 row_shr:4 row_mask:0xf bank_mask:0xf
	s_delay_alu instid0(VALU_DEP_1) | instskip(NEXT) | instid1(VALU_DEP_1)
	v_cndmask_b32_e64 v16, 0, v16, s1
	v_add_nc_u32_e32 v15, v15, v16
	s_delay_alu instid0(VALU_DEP_1) | instskip(NEXT) | instid1(VALU_DEP_1)
	v_mov_b32_dpp v16, v15 row_shr:8 row_mask:0xf bank_mask:0xf
	v_cndmask_b32_e64 v16, 0, v16, s2
	s_delay_alu instid0(VALU_DEP_1)
	v_add_nc_u32_e32 v15, v15, v16
	ds_store_b32 v4, v15 offset:16320
.LBB42_9:
	s_or_b32 exec_lo, exec_lo, s4
	v_cmp_lt_u32_e32 vcc_lo, 31, v0
	v_dual_mov_b32 v0, 0 :: v_dual_mov_b32 v15, 0
	s_waitcnt lgkmcnt(0)
	s_barrier
	buffer_gl0_inv
	s_and_saveexec_b32 s0, vcc_lo
	s_cbranch_execz .LBB42_11
; %bb.10:
	ds_load_b32 v15, v14 offset:16316
.LBB42_11:
	s_or_b32 exec_lo, exec_lo, s0
	v_add_nc_u32_e32 v14, -1, v12
	ds_load_b32 v0, v0 offset:16380
	s_lshl_b64 s[0:1], s[8:9], 2
	s_waitcnt lgkmcnt(1)
	v_add_nc_u32_e32 v13, v15, v13
	s_add_u32 s0, s6, s0
	v_cmp_gt_i32_e32 vcc_lo, 0, v14
	s_addc_u32 s1, s7, s1
	v_cndmask_b32_e32 v14, v14, v12, vcc_lo
	v_cmp_eq_u32_e32 vcc_lo, 0, v12
	s_delay_alu instid0(VALU_DEP_2) | instskip(SKIP_3) | instid1(VALU_DEP_1)
	v_lshlrev_b32_e32 v14, 2, v14
	ds_bpermute_b32 v13, v14, v13
	s_waitcnt lgkmcnt(0)
	v_cndmask_b32_e32 v12, v13, v15, vcc_lo
	v_lshl_add_u32 v0, v0, 16, v12
	s_delay_alu instid0(VALU_DEP_1) | instskip(NEXT) | instid1(VALU_DEP_1)
	v_add_nc_u32_e32 v7, v0, v7
	v_add_nc_u32_e32 v8, v7, v8
	s_delay_alu instid0(VALU_DEP_1) | instskip(NEXT) | instid1(VALU_DEP_1)
	v_add_nc_u32_e32 v5, v8, v5
	v_add_nc_u32_e32 v6, v5, v6
	;; [unrolled: 3-line block ×3, first 2 shown]
	s_delay_alu instid0(VALU_DEP_1)
	v_add_nc_u32_e32 v3, v2, v3
	ds_store_2addr_b32 v11, v0, v7 offset1:1
	ds_store_2addr_b32 v11, v8, v5 offset0:2 offset1:3
	ds_store_2addr_b32 v11, v6, v1 offset0:4 offset1:5
	;; [unrolled: 1-line block ×3, first 2 shown]
	s_waitcnt lgkmcnt(0)
	s_barrier
	buffer_gl0_inv
	ds_load_u16 v0, v9
	v_and_b32_e32 v1, 0xffff, v10
	s_waitcnt lgkmcnt(0)
	s_delay_alu instid0(VALU_DEP_1)
	v_add_nc_u32_e32 v0, v0, v1
	global_store_b32 v4, v0, s[0:1]
	s_nop 0
	s_sendmsg sendmsg(MSG_DEALLOC_VGPRS)
	s_endpgm
	.section	.rodata,"a",@progbits
	.p2align	6, 0x0
	.amdhsa_kernel _Z11rank_kernelILj510ELj1ELj4ELb1EL18RadixRankAlgorithm1ExEvPKT4_Pijj
		.amdhsa_group_segment_fixed_size 16384
		.amdhsa_private_segment_fixed_size 0
		.amdhsa_kernarg_size 24
		.amdhsa_user_sgpr_count 15
		.amdhsa_user_sgpr_dispatch_ptr 0
		.amdhsa_user_sgpr_queue_ptr 0
		.amdhsa_user_sgpr_kernarg_segment_ptr 1
		.amdhsa_user_sgpr_dispatch_id 0
		.amdhsa_user_sgpr_private_segment_size 0
		.amdhsa_wavefront_size32 1
		.amdhsa_uses_dynamic_stack 0
		.amdhsa_enable_private_segment 0
		.amdhsa_system_sgpr_workgroup_id_x 1
		.amdhsa_system_sgpr_workgroup_id_y 0
		.amdhsa_system_sgpr_workgroup_id_z 0
		.amdhsa_system_sgpr_workgroup_info 0
		.amdhsa_system_vgpr_workitem_id 0
		.amdhsa_next_free_vgpr 17
		.amdhsa_next_free_sgpr 16
		.amdhsa_reserve_vcc 1
		.amdhsa_float_round_mode_32 0
		.amdhsa_float_round_mode_16_64 0
		.amdhsa_float_denorm_mode_32 3
		.amdhsa_float_denorm_mode_16_64 3
		.amdhsa_dx10_clamp 1
		.amdhsa_ieee_mode 1
		.amdhsa_fp16_overflow 0
		.amdhsa_workgroup_processor_mode 1
		.amdhsa_memory_ordered 1
		.amdhsa_forward_progress 0
		.amdhsa_shared_vgpr_count 0
		.amdhsa_exception_fp_ieee_invalid_op 0
		.amdhsa_exception_fp_denorm_src 0
		.amdhsa_exception_fp_ieee_div_zero 0
		.amdhsa_exception_fp_ieee_overflow 0
		.amdhsa_exception_fp_ieee_underflow 0
		.amdhsa_exception_fp_ieee_inexact 0
		.amdhsa_exception_int_div_zero 0
	.end_amdhsa_kernel
	.section	.text._Z11rank_kernelILj510ELj1ELj4ELb1EL18RadixRankAlgorithm1ExEvPKT4_Pijj,"axG",@progbits,_Z11rank_kernelILj510ELj1ELj4ELb1EL18RadixRankAlgorithm1ExEvPKT4_Pijj,comdat
.Lfunc_end42:
	.size	_Z11rank_kernelILj510ELj1ELj4ELb1EL18RadixRankAlgorithm1ExEvPKT4_Pijj, .Lfunc_end42-_Z11rank_kernelILj510ELj1ELj4ELb1EL18RadixRankAlgorithm1ExEvPKT4_Pijj
                                        ; -- End function
	.section	.AMDGPU.csdata,"",@progbits
; Kernel info:
; codeLenInByte = 1056
; NumSgprs: 18
; NumVgprs: 17
; ScratchSize: 0
; MemoryBound: 0
; FloatMode: 240
; IeeeMode: 1
; LDSByteSize: 16384 bytes/workgroup (compile time only)
; SGPRBlocks: 2
; VGPRBlocks: 2
; NumSGPRsForWavesPerEU: 18
; NumVGPRsForWavesPerEU: 17
; Occupancy: 16
; WaveLimiterHint : 0
; COMPUTE_PGM_RSRC2:SCRATCH_EN: 0
; COMPUTE_PGM_RSRC2:USER_SGPR: 15
; COMPUTE_PGM_RSRC2:TRAP_HANDLER: 0
; COMPUTE_PGM_RSRC2:TGID_X_EN: 1
; COMPUTE_PGM_RSRC2:TGID_Y_EN: 0
; COMPUTE_PGM_RSRC2:TGID_Z_EN: 0
; COMPUTE_PGM_RSRC2:TIDIG_COMP_CNT: 0
	.section	.text._Z11rank_kernelILj37ELj1ELj4ELb0EL18RadixRankAlgorithm1EfEvPKT4_Pijj,"axG",@progbits,_Z11rank_kernelILj37ELj1ELj4ELb0EL18RadixRankAlgorithm1EfEvPKT4_Pijj,comdat
	.protected	_Z11rank_kernelILj37ELj1ELj4ELb0EL18RadixRankAlgorithm1EfEvPKT4_Pijj ; -- Begin function _Z11rank_kernelILj37ELj1ELj4ELb0EL18RadixRankAlgorithm1EfEvPKT4_Pijj
	.globl	_Z11rank_kernelILj37ELj1ELj4ELb0EL18RadixRankAlgorithm1EfEvPKT4_Pijj
	.p2align	8
	.type	_Z11rank_kernelILj37ELj1ELj4ELb0EL18RadixRankAlgorithm1EfEvPKT4_Pijj,@function
_Z11rank_kernelILj37ELj1ELj4ELb0EL18RadixRankAlgorithm1EfEvPKT4_Pijj: ; @_Z11rank_kernelILj37ELj1ELj4ELb0EL18RadixRankAlgorithm1EfEvPKT4_Pijj
; %bb.0:
	s_load_b128 s[4:7], s[0:1], 0x0
	s_mul_i32 s8, s15, 37
	s_mov_b32 s9, 0
	v_lshlrev_b32_e32 v9, 2, v0
	s_lshl_b64 s[2:3], s[8:9], 2
	s_waitcnt lgkmcnt(0)
	s_add_u32 s4, s4, s2
	s_addc_u32 s5, s5, s3
	global_load_b32 v1, v9, s[4:5]
	s_mov_b32 s4, exec_lo
	v_cmpx_gt_u32_e32 0x128, v0
	s_cbranch_execz .LBB43_3
; %bb.1:
	v_subrev_nc_u32_e32 v2, 37, v0
	v_dual_mov_b32 v3, 0 :: v_dual_mov_b32 v4, v9
.LBB43_2:                               ; =>This Inner Loop Header: Depth=1
	s_delay_alu instid0(VALU_DEP_2) | instskip(SKIP_4) | instid1(SALU_CYCLE_1)
	v_add_nc_u32_e32 v2, 37, v2
	ds_store_b32 v4, v3
	v_add_nc_u32_e32 v4, 0x94, v4
	v_cmp_lt_u32_e32 vcc_lo, 0x102, v2
	s_or_b32 s9, vcc_lo, s9
	s_and_not1_b32 exec_lo, exec_lo, s9
	s_cbranch_execnz .LBB43_2
.LBB43_3:
	s_or_b32 exec_lo, exec_lo, s4
	s_load_b64 s[0:1], s[0:1], 0x10
	s_waitcnt vmcnt(0)
	v_cmp_lt_i32_e32 vcc_lo, -1, v1
	v_lshlrev_b32_e32 v12, 5, v0
	v_cndmask_b32_e64 v2, -1, 0x80000000, vcc_lo
	s_delay_alu instid0(VALU_DEP_1) | instskip(NEXT) | instid1(VALU_DEP_1)
	v_xor_b32_e32 v1, v2, v1
	v_cmp_ne_u32_e32 vcc_lo, 0x7fffffff, v1
	s_waitcnt lgkmcnt(0)
	s_and_b32 s1, s1, 31
	s_and_b32 s0, s0, 31
	v_cndmask_b32_e32 v1, 0x80000000, v1, vcc_lo
	s_add_i32 s0, s0, s1
	s_delay_alu instid0(SALU_CYCLE_1)
	s_sub_i32 s0, 32, s0
	s_delay_alu instid0(VALU_DEP_1) | instid1(SALU_CYCLE_1)
	v_lshlrev_b32_e32 v1, s0, v1
	s_sub_i32 s0, 32, s1
	s_cmp_lg_u32 s1, 0
	s_cselect_b32 vcc_lo, -1, 0
	s_delay_alu instid0(VALU_DEP_1) | instskip(SKIP_1) | instid1(VALU_DEP_1)
	v_lshrrev_b32_e32 v1, s0, v1
	s_mov_b32 s0, exec_lo
	v_cndmask_b32_e32 v1, 0, v1, vcc_lo
	s_delay_alu instid0(VALU_DEP_1) | instskip(SKIP_1) | instid1(VALU_DEP_2)
	v_and_b32_e32 v2, 7, v1
	v_lshrrev_b32_e32 v1, 3, v1
	v_mul_u32_u24_e32 v2, 37, v2
	s_delay_alu instid0(VALU_DEP_1) | instskip(NEXT) | instid1(VALU_DEP_1)
	v_add_lshl_u32 v2, v2, v0, 1
	v_add_lshl_u32 v10, v2, v1, 1
	ds_load_u16 v11, v10
	s_waitcnt lgkmcnt(0)
	v_add_nc_u16 v1, v11, 1
	ds_store_b16 v10, v1
	s_waitcnt lgkmcnt(0)
	s_barrier
	buffer_gl0_inv
	ds_load_2addr_b32 v[7:8], v12 offset1:1
	ds_load_2addr_b32 v[5:6], v12 offset0:2 offset1:3
	ds_load_2addr_b32 v[1:2], v12 offset0:4 offset1:5
	;; [unrolled: 1-line block ×3, first 2 shown]
	s_waitcnt lgkmcnt(3)
	v_add_nc_u32_e32 v13, v8, v7
	s_waitcnt lgkmcnt(2)
	s_delay_alu instid0(VALU_DEP_1) | instskip(SKIP_1) | instid1(VALU_DEP_1)
	v_add3_u32 v13, v13, v5, v6
	s_waitcnt lgkmcnt(1)
	v_add3_u32 v14, v13, v1, v2
	v_mbcnt_lo_u32_b32 v13, -1, 0
	s_waitcnt lgkmcnt(0)
	s_delay_alu instid0(VALU_DEP_2) | instskip(NEXT) | instid1(VALU_DEP_2)
	v_add3_u32 v4, v14, v3, v4
	v_and_b32_e32 v14, 15, v13
	v_bfe_i32 v16, v13, 4, 1
	s_delay_alu instid0(VALU_DEP_3) | instskip(NEXT) | instid1(VALU_DEP_3)
	v_mov_b32_dpp v15, v4 row_shr:1 row_mask:0xf bank_mask:0xf
	v_cmp_ne_u32_e32 vcc_lo, 0, v14
	s_delay_alu instid0(VALU_DEP_2) | instskip(SKIP_1) | instid1(VALU_DEP_2)
	v_cndmask_b32_e32 v15, 0, v15, vcc_lo
	v_cmp_lt_u32_e32 vcc_lo, 1, v14
	v_add_nc_u32_e32 v4, v15, v4
	s_delay_alu instid0(VALU_DEP_1) | instskip(NEXT) | instid1(VALU_DEP_1)
	v_mov_b32_dpp v15, v4 row_shr:2 row_mask:0xf bank_mask:0xf
	v_cndmask_b32_e32 v15, 0, v15, vcc_lo
	v_cmp_lt_u32_e32 vcc_lo, 3, v14
	s_delay_alu instid0(VALU_DEP_2) | instskip(NEXT) | instid1(VALU_DEP_1)
	v_add_nc_u32_e32 v4, v4, v15
	v_mov_b32_dpp v15, v4 row_shr:4 row_mask:0xf bank_mask:0xf
	s_delay_alu instid0(VALU_DEP_1) | instskip(SKIP_1) | instid1(VALU_DEP_2)
	v_cndmask_b32_e32 v15, 0, v15, vcc_lo
	v_cmp_lt_u32_e32 vcc_lo, 7, v14
	v_add_nc_u32_e32 v4, v4, v15
	s_delay_alu instid0(VALU_DEP_1) | instskip(NEXT) | instid1(VALU_DEP_1)
	v_mov_b32_dpp v15, v4 row_shr:8 row_mask:0xf bank_mask:0xf
	v_dual_cndmask_b32 v14, 0, v15 :: v_dual_and_b32 v15, 32, v0
	s_delay_alu instid0(VALU_DEP_1) | instskip(NEXT) | instid1(VALU_DEP_2)
	v_add_nc_u32_e32 v4, v4, v14
	v_min_u32_e32 v15, 5, v15
	ds_swizzle_b32 v14, v4 offset:swizzle(BROADCAST,32,15)
	v_add_nc_u32_e32 v15, 31, v15
	s_waitcnt lgkmcnt(0)
	v_and_b32_e32 v14, v16, v14
	v_lshrrev_b32_e32 v16, 5, v0
	s_delay_alu instid0(VALU_DEP_2) | instskip(NEXT) | instid1(VALU_DEP_2)
	v_add_nc_u32_e32 v4, v4, v14
	v_lshlrev_b32_e32 v14, 2, v16
	v_cmpx_eq_u32_e64 v15, v0
	s_cbranch_execz .LBB43_5
; %bb.4:
	ds_store_b32 v14, v4 offset:1184
.LBB43_5:
	s_or_b32 exec_lo, exec_lo, s0
	s_delay_alu instid0(SALU_CYCLE_1)
	s_mov_b32 s0, exec_lo
	s_waitcnt lgkmcnt(0)
	s_barrier
	buffer_gl0_inv
	v_cmpx_gt_u32_e32 2, v0
	s_cbranch_execz .LBB43_7
; %bb.6:
	ds_load_b32 v15, v9 offset:1184
	v_bfe_i32 v16, v13, 0, 1
	s_waitcnt lgkmcnt(0)
	v_mov_b32_dpp v17, v15 row_shr:1 row_mask:0xf bank_mask:0xf
	s_delay_alu instid0(VALU_DEP_1) | instskip(NEXT) | instid1(VALU_DEP_1)
	v_and_b32_e32 v16, v16, v17
	v_add_nc_u32_e32 v15, v16, v15
	ds_store_b32 v9, v15 offset:1184
.LBB43_7:
	s_or_b32 exec_lo, exec_lo, s0
	v_cmp_lt_u32_e32 vcc_lo, 31, v0
	v_dual_mov_b32 v0, 0 :: v_dual_mov_b32 v15, 0
	s_waitcnt lgkmcnt(0)
	s_barrier
	buffer_gl0_inv
	s_and_saveexec_b32 s0, vcc_lo
	s_cbranch_execz .LBB43_9
; %bb.8:
	ds_load_b32 v15, v14 offset:1180
.LBB43_9:
	s_or_b32 exec_lo, exec_lo, s0
	v_add_nc_u32_e32 v14, -1, v13
	s_waitcnt lgkmcnt(0)
	v_add_nc_u32_e32 v4, v15, v4
	ds_load_b32 v0, v0 offset:1188
	s_add_u32 s0, s6, s2
	s_addc_u32 s1, s7, s3
	v_cmp_gt_i32_e32 vcc_lo, 0, v14
	v_cndmask_b32_e32 v14, v14, v13, vcc_lo
	v_cmp_eq_u32_e32 vcc_lo, 0, v13
	s_delay_alu instid0(VALU_DEP_2) | instskip(SKIP_3) | instid1(VALU_DEP_1)
	v_lshlrev_b32_e32 v14, 2, v14
	ds_bpermute_b32 v4, v14, v4
	s_waitcnt lgkmcnt(0)
	v_cndmask_b32_e32 v4, v4, v15, vcc_lo
	v_lshl_add_u32 v0, v0, 16, v4
	s_delay_alu instid0(VALU_DEP_1) | instskip(NEXT) | instid1(VALU_DEP_1)
	v_add_nc_u32_e32 v4, v0, v7
	v_add_nc_u32_e32 v7, v4, v8
	s_delay_alu instid0(VALU_DEP_1) | instskip(NEXT) | instid1(VALU_DEP_1)
	v_add_nc_u32_e32 v5, v7, v5
	v_add_nc_u32_e32 v6, v5, v6
	s_delay_alu instid0(VALU_DEP_1) | instskip(NEXT) | instid1(VALU_DEP_1)
	v_add_nc_u32_e32 v1, v6, v1
	v_add_nc_u32_e32 v2, v1, v2
	s_delay_alu instid0(VALU_DEP_1)
	v_add_nc_u32_e32 v3, v2, v3
	ds_store_2addr_b32 v12, v0, v4 offset1:1
	ds_store_2addr_b32 v12, v7, v5 offset0:2 offset1:3
	ds_store_2addr_b32 v12, v6, v1 offset0:4 offset1:5
	;; [unrolled: 1-line block ×3, first 2 shown]
	s_waitcnt lgkmcnt(0)
	s_barrier
	buffer_gl0_inv
	ds_load_u16 v0, v10
	v_and_b32_e32 v1, 0xffff, v11
	s_waitcnt lgkmcnt(0)
	s_delay_alu instid0(VALU_DEP_1)
	v_add_nc_u32_e32 v0, v0, v1
	global_store_b32 v9, v0, s[0:1]
	s_nop 0
	s_sendmsg sendmsg(MSG_DEALLOC_VGPRS)
	s_endpgm
	.section	.rodata,"a",@progbits
	.p2align	6, 0x0
	.amdhsa_kernel _Z11rank_kernelILj37ELj1ELj4ELb0EL18RadixRankAlgorithm1EfEvPKT4_Pijj
		.amdhsa_group_segment_fixed_size 1200
		.amdhsa_private_segment_fixed_size 0
		.amdhsa_kernarg_size 24
		.amdhsa_user_sgpr_count 15
		.amdhsa_user_sgpr_dispatch_ptr 0
		.amdhsa_user_sgpr_queue_ptr 0
		.amdhsa_user_sgpr_kernarg_segment_ptr 1
		.amdhsa_user_sgpr_dispatch_id 0
		.amdhsa_user_sgpr_private_segment_size 0
		.amdhsa_wavefront_size32 1
		.amdhsa_uses_dynamic_stack 0
		.amdhsa_enable_private_segment 0
		.amdhsa_system_sgpr_workgroup_id_x 1
		.amdhsa_system_sgpr_workgroup_id_y 0
		.amdhsa_system_sgpr_workgroup_id_z 0
		.amdhsa_system_sgpr_workgroup_info 0
		.amdhsa_system_vgpr_workitem_id 0
		.amdhsa_next_free_vgpr 18
		.amdhsa_next_free_sgpr 16
		.amdhsa_reserve_vcc 1
		.amdhsa_float_round_mode_32 0
		.amdhsa_float_round_mode_16_64 0
		.amdhsa_float_denorm_mode_32 3
		.amdhsa_float_denorm_mode_16_64 3
		.amdhsa_dx10_clamp 1
		.amdhsa_ieee_mode 1
		.amdhsa_fp16_overflow 0
		.amdhsa_workgroup_processor_mode 1
		.amdhsa_memory_ordered 1
		.amdhsa_forward_progress 0
		.amdhsa_shared_vgpr_count 0
		.amdhsa_exception_fp_ieee_invalid_op 0
		.amdhsa_exception_fp_denorm_src 0
		.amdhsa_exception_fp_ieee_div_zero 0
		.amdhsa_exception_fp_ieee_overflow 0
		.amdhsa_exception_fp_ieee_underflow 0
		.amdhsa_exception_fp_ieee_inexact 0
		.amdhsa_exception_int_div_zero 0
	.end_amdhsa_kernel
	.section	.text._Z11rank_kernelILj37ELj1ELj4ELb0EL18RadixRankAlgorithm1EfEvPKT4_Pijj,"axG",@progbits,_Z11rank_kernelILj37ELj1ELj4ELb0EL18RadixRankAlgorithm1EfEvPKT4_Pijj,comdat
.Lfunc_end43:
	.size	_Z11rank_kernelILj37ELj1ELj4ELb0EL18RadixRankAlgorithm1EfEvPKT4_Pijj, .Lfunc_end43-_Z11rank_kernelILj37ELj1ELj4ELb0EL18RadixRankAlgorithm1EfEvPKT4_Pijj
                                        ; -- End function
	.section	.AMDGPU.csdata,"",@progbits
; Kernel info:
; codeLenInByte = 940
; NumSgprs: 18
; NumVgprs: 18
; ScratchSize: 0
; MemoryBound: 0
; FloatMode: 240
; IeeeMode: 1
; LDSByteSize: 1200 bytes/workgroup (compile time only)
; SGPRBlocks: 2
; VGPRBlocks: 2
; NumSGPRsForWavesPerEU: 18
; NumVGPRsForWavesPerEU: 18
; Occupancy: 16
; WaveLimiterHint : 0
; COMPUTE_PGM_RSRC2:SCRATCH_EN: 0
; COMPUTE_PGM_RSRC2:USER_SGPR: 15
; COMPUTE_PGM_RSRC2:TRAP_HANDLER: 0
; COMPUTE_PGM_RSRC2:TGID_X_EN: 1
; COMPUTE_PGM_RSRC2:TGID_Y_EN: 0
; COMPUTE_PGM_RSRC2:TGID_Z_EN: 0
; COMPUTE_PGM_RSRC2:TIDIG_COMP_CNT: 0
	.section	.text._Z11rank_kernelILj65ELj1ELj4ELb0EL18RadixRankAlgorithm1EdEvPKT4_Pijj,"axG",@progbits,_Z11rank_kernelILj65ELj1ELj4ELb0EL18RadixRankAlgorithm1EdEvPKT4_Pijj,comdat
	.protected	_Z11rank_kernelILj65ELj1ELj4ELb0EL18RadixRankAlgorithm1EdEvPKT4_Pijj ; -- Begin function _Z11rank_kernelILj65ELj1ELj4ELb0EL18RadixRankAlgorithm1EdEvPKT4_Pijj
	.globl	_Z11rank_kernelILj65ELj1ELj4ELb0EL18RadixRankAlgorithm1EdEvPKT4_Pijj
	.p2align	8
	.type	_Z11rank_kernelILj65ELj1ELj4ELb0EL18RadixRankAlgorithm1EdEvPKT4_Pijj,@function
_Z11rank_kernelILj65ELj1ELj4ELb0EL18RadixRankAlgorithm1EdEvPKT4_Pijj: ; @_Z11rank_kernelILj65ELj1ELj4ELb0EL18RadixRankAlgorithm1EdEvPKT4_Pijj
; %bb.0:
	s_load_b128 s[4:7], s[0:1], 0x0
	s_mul_i32 s2, s15, 0x41
	s_mov_b32 s3, 0
	v_lshlrev_b32_e32 v1, 3, v0
	s_lshl_b64 s[8:9], s[2:3], 3
	v_lshlrev_b32_e32 v9, 2, v0
	s_waitcnt lgkmcnt(0)
	s_add_u32 s4, s4, s8
	s_addc_u32 s5, s5, s9
	global_load_b64 v[1:2], v1, s[4:5]
	s_mov_b32 s4, exec_lo
	v_cmpx_gt_u32_e32 0x208, v0
	s_cbranch_execz .LBB44_3
; %bb.1:
	v_dual_mov_b32 v4, 0 :: v_dual_add_nc_u32 v3, 0xffffffbf, v0
	v_mov_b32_e32 v5, v9
	s_mov_b32 s5, s3
.LBB44_2:                               ; =>This Inner Loop Header: Depth=1
	s_delay_alu instid0(VALU_DEP_2) | instskip(SKIP_4) | instid1(SALU_CYCLE_1)
	v_add_nc_u32_e32 v3, 0x41, v3
	ds_store_b32 v5, v4
	v_add_nc_u32_e32 v5, 0x104, v5
	v_cmp_lt_u32_e32 vcc_lo, 0x1c6, v3
	s_or_b32 s5, vcc_lo, s5
	s_and_not1_b32 exec_lo, exec_lo, s5
	s_cbranch_execnz .LBB44_2
.LBB44_3:
	s_or_b32 exec_lo, exec_lo, s4
	s_load_b64 s[0:1], s[0:1], 0x10
	v_mov_b32_e32 v3, 0
	s_waitcnt lgkmcnt(0)
	s_and_b32 s1, s1, 63
	s_delay_alu instid0(SALU_CYCLE_1)
	s_cmp_eq_u32 s1, 0
	s_cbranch_scc1 .LBB44_5
; %bb.4:
	s_waitcnt vmcnt(0)
	v_cmp_lt_i64_e32 vcc_lo, -1, v[1:2]
	v_ashrrev_i32_e32 v4, 31, v2
	s_mov_b32 s4, -1
	s_brev_b32 s5, -2
	s_and_b32 s0, s0, 63
	s_delay_alu instid0(VALU_DEP_1) | instskip(SKIP_2) | instid1(SALU_CYCLE_1)
	v_xor_b32_e32 v1, v4, v1
	v_cndmask_b32_e64 v3, -1, 0x80000000, vcc_lo
	s_add_i32 s0, s0, s1
	s_sub_i32 s0, 64, s0
	s_delay_alu instid0(VALU_DEP_1) | instskip(NEXT) | instid1(VALU_DEP_1)
	v_xor_b32_e32 v2, v3, v2
	v_cmp_ne_u64_e32 vcc_lo, s[4:5], v[1:2]
	v_cndmask_b32_e32 v2, 0x80000000, v2, vcc_lo
	v_cndmask_b32_e32 v1, 0, v1, vcc_lo
	s_delay_alu instid0(VALU_DEP_1)
	v_lshlrev_b64 v[1:2], s0, v[1:2]
	s_sub_i32 s0, 64, s1
	s_delay_alu instid0(VALU_DEP_1) | instid1(SALU_CYCLE_1)
	v_lshrrev_b64 v[3:4], s0, v[1:2]
.LBB44_5:
	s_waitcnt vmcnt(0)
	s_delay_alu instid0(VALU_DEP_1) | instskip(SKIP_3) | instid1(VALU_DEP_3)
	v_and_b32_e32 v1, 7, v3
	v_lshrrev_b32_e32 v2, 3, v3
	v_lshlrev_b32_e32 v12, 5, v0
	s_mov_b32 s0, exec_lo
	v_mul_u32_u24_e32 v1, 0x41, v1
	s_delay_alu instid0(VALU_DEP_1) | instskip(NEXT) | instid1(VALU_DEP_1)
	v_add_lshl_u32 v1, v1, v0, 1
	v_add_lshl_u32 v10, v1, v2, 1
	ds_load_u16 v11, v10
	s_waitcnt lgkmcnt(0)
	v_add_nc_u16 v1, v11, 1
	ds_store_b16 v10, v1
	s_waitcnt lgkmcnt(0)
	s_barrier
	buffer_gl0_inv
	ds_load_2addr_b32 v[7:8], v12 offset1:1
	ds_load_2addr_b32 v[5:6], v12 offset0:2 offset1:3
	ds_load_2addr_b32 v[1:2], v12 offset0:4 offset1:5
	;; [unrolled: 1-line block ×3, first 2 shown]
	s_waitcnt lgkmcnt(3)
	v_add_nc_u32_e32 v13, v8, v7
	s_waitcnt lgkmcnt(2)
	s_delay_alu instid0(VALU_DEP_1) | instskip(SKIP_1) | instid1(VALU_DEP_1)
	v_add3_u32 v13, v13, v5, v6
	s_waitcnt lgkmcnt(1)
	v_add3_u32 v14, v13, v1, v2
	v_mbcnt_lo_u32_b32 v13, -1, 0
	s_waitcnt lgkmcnt(0)
	s_delay_alu instid0(VALU_DEP_2) | instskip(NEXT) | instid1(VALU_DEP_2)
	v_add3_u32 v4, v14, v3, v4
	v_and_b32_e32 v14, 15, v13
	v_bfe_i32 v16, v13, 4, 1
	s_delay_alu instid0(VALU_DEP_3) | instskip(NEXT) | instid1(VALU_DEP_3)
	v_mov_b32_dpp v15, v4 row_shr:1 row_mask:0xf bank_mask:0xf
	v_cmp_ne_u32_e32 vcc_lo, 0, v14
	s_delay_alu instid0(VALU_DEP_2) | instskip(SKIP_1) | instid1(VALU_DEP_2)
	v_cndmask_b32_e32 v15, 0, v15, vcc_lo
	v_cmp_lt_u32_e32 vcc_lo, 1, v14
	v_add_nc_u32_e32 v4, v15, v4
	s_delay_alu instid0(VALU_DEP_1) | instskip(NEXT) | instid1(VALU_DEP_1)
	v_mov_b32_dpp v15, v4 row_shr:2 row_mask:0xf bank_mask:0xf
	v_cndmask_b32_e32 v15, 0, v15, vcc_lo
	v_cmp_lt_u32_e32 vcc_lo, 3, v14
	s_delay_alu instid0(VALU_DEP_2) | instskip(NEXT) | instid1(VALU_DEP_1)
	v_add_nc_u32_e32 v4, v4, v15
	v_mov_b32_dpp v15, v4 row_shr:4 row_mask:0xf bank_mask:0xf
	s_delay_alu instid0(VALU_DEP_1) | instskip(SKIP_1) | instid1(VALU_DEP_2)
	v_cndmask_b32_e32 v15, 0, v15, vcc_lo
	v_cmp_lt_u32_e32 vcc_lo, 7, v14
	v_add_nc_u32_e32 v4, v4, v15
	s_delay_alu instid0(VALU_DEP_1) | instskip(NEXT) | instid1(VALU_DEP_1)
	v_mov_b32_dpp v15, v4 row_shr:8 row_mask:0xf bank_mask:0xf
	v_dual_cndmask_b32 v14, 0, v15 :: v_dual_and_b32 v15, 0x60, v0
	s_delay_alu instid0(VALU_DEP_1) | instskip(NEXT) | instid1(VALU_DEP_2)
	v_add_nc_u32_e32 v4, v4, v14
	v_min_u32_e32 v15, 33, v15
	ds_swizzle_b32 v14, v4 offset:swizzle(BROADCAST,32,15)
	v_add_nc_u32_e32 v15, 31, v15
	s_waitcnt lgkmcnt(0)
	v_and_b32_e32 v14, v16, v14
	v_lshrrev_b32_e32 v16, 5, v0
	s_delay_alu instid0(VALU_DEP_2) | instskip(NEXT) | instid1(VALU_DEP_2)
	v_add_nc_u32_e32 v4, v4, v14
	v_lshlrev_b32_e32 v14, 2, v16
	v_cmpx_eq_u32_e64 v15, v0
	s_cbranch_execz .LBB44_7
; %bb.6:
	ds_store_b32 v14, v4 offset:2080
.LBB44_7:
	s_or_b32 exec_lo, exec_lo, s0
	s_delay_alu instid0(SALU_CYCLE_1)
	s_mov_b32 s0, exec_lo
	s_waitcnt lgkmcnt(0)
	s_barrier
	buffer_gl0_inv
	v_cmpx_gt_u32_e32 3, v0
	s_cbranch_execz .LBB44_9
; %bb.8:
	ds_load_b32 v15, v9 offset:2080
	v_and_b32_e32 v16, 3, v13
	s_delay_alu instid0(VALU_DEP_1) | instskip(SKIP_2) | instid1(VALU_DEP_1)
	v_cmp_ne_u32_e32 vcc_lo, 0, v16
	s_waitcnt lgkmcnt(0)
	v_mov_b32_dpp v17, v15 row_shr:1 row_mask:0xf bank_mask:0xf
	v_cndmask_b32_e32 v17, 0, v17, vcc_lo
	v_cmp_lt_u32_e32 vcc_lo, 1, v16
	s_delay_alu instid0(VALU_DEP_2) | instskip(NEXT) | instid1(VALU_DEP_1)
	v_add_nc_u32_e32 v15, v17, v15
	v_mov_b32_dpp v17, v15 row_shr:2 row_mask:0xf bank_mask:0xf
	s_delay_alu instid0(VALU_DEP_1) | instskip(NEXT) | instid1(VALU_DEP_1)
	v_cndmask_b32_e32 v16, 0, v17, vcc_lo
	v_add_nc_u32_e32 v15, v15, v16
	ds_store_b32 v9, v15 offset:2080
.LBB44_9:
	s_or_b32 exec_lo, exec_lo, s0
	v_cmp_lt_u32_e32 vcc_lo, 31, v0
	v_dual_mov_b32 v0, 0 :: v_dual_mov_b32 v15, 0
	s_waitcnt lgkmcnt(0)
	s_barrier
	buffer_gl0_inv
	s_and_saveexec_b32 s0, vcc_lo
	s_cbranch_execz .LBB44_11
; %bb.10:
	ds_load_b32 v15, v14 offset:2076
.LBB44_11:
	s_or_b32 exec_lo, exec_lo, s0
	v_add_nc_u32_e32 v14, -1, v13
	s_waitcnt lgkmcnt(0)
	v_add_nc_u32_e32 v4, v15, v4
	ds_load_b32 v0, v0 offset:2088
	s_lshl_b64 s[0:1], s[2:3], 2
	s_delay_alu instid0(SALU_CYCLE_1) | instskip(SKIP_4) | instid1(VALU_DEP_2)
	s_add_u32 s0, s6, s0
	v_cmp_gt_i32_e32 vcc_lo, 0, v14
	s_addc_u32 s1, s7, s1
	v_cndmask_b32_e32 v14, v14, v13, vcc_lo
	v_cmp_eq_u32_e32 vcc_lo, 0, v13
	v_lshlrev_b32_e32 v14, 2, v14
	ds_bpermute_b32 v4, v14, v4
	s_waitcnt lgkmcnt(0)
	v_cndmask_b32_e32 v4, v4, v15, vcc_lo
	s_delay_alu instid0(VALU_DEP_1) | instskip(NEXT) | instid1(VALU_DEP_1)
	v_lshl_add_u32 v0, v0, 16, v4
	v_add_nc_u32_e32 v4, v0, v7
	s_delay_alu instid0(VALU_DEP_1) | instskip(NEXT) | instid1(VALU_DEP_1)
	v_add_nc_u32_e32 v7, v4, v8
	v_add_nc_u32_e32 v5, v7, v5
	s_delay_alu instid0(VALU_DEP_1) | instskip(NEXT) | instid1(VALU_DEP_1)
	v_add_nc_u32_e32 v6, v5, v6
	;; [unrolled: 3-line block ×3, first 2 shown]
	v_add_nc_u32_e32 v3, v2, v3
	ds_store_2addr_b32 v12, v0, v4 offset1:1
	ds_store_2addr_b32 v12, v7, v5 offset0:2 offset1:3
	ds_store_2addr_b32 v12, v6, v1 offset0:4 offset1:5
	;; [unrolled: 1-line block ×3, first 2 shown]
	s_waitcnt lgkmcnt(0)
	s_barrier
	buffer_gl0_inv
	ds_load_u16 v0, v10
	v_and_b32_e32 v1, 0xffff, v11
	s_waitcnt lgkmcnt(0)
	s_delay_alu instid0(VALU_DEP_1)
	v_add_nc_u32_e32 v0, v0, v1
	global_store_b32 v9, v0, s[0:1]
	s_nop 0
	s_sendmsg sendmsg(MSG_DEALLOC_VGPRS)
	s_endpgm
	.section	.rodata,"a",@progbits
	.p2align	6, 0x0
	.amdhsa_kernel _Z11rank_kernelILj65ELj1ELj4ELb0EL18RadixRankAlgorithm1EdEvPKT4_Pijj
		.amdhsa_group_segment_fixed_size 2096
		.amdhsa_private_segment_fixed_size 0
		.amdhsa_kernarg_size 24
		.amdhsa_user_sgpr_count 15
		.amdhsa_user_sgpr_dispatch_ptr 0
		.amdhsa_user_sgpr_queue_ptr 0
		.amdhsa_user_sgpr_kernarg_segment_ptr 1
		.amdhsa_user_sgpr_dispatch_id 0
		.amdhsa_user_sgpr_private_segment_size 0
		.amdhsa_wavefront_size32 1
		.amdhsa_uses_dynamic_stack 0
		.amdhsa_enable_private_segment 0
		.amdhsa_system_sgpr_workgroup_id_x 1
		.amdhsa_system_sgpr_workgroup_id_y 0
		.amdhsa_system_sgpr_workgroup_id_z 0
		.amdhsa_system_sgpr_workgroup_info 0
		.amdhsa_system_vgpr_workitem_id 0
		.amdhsa_next_free_vgpr 18
		.amdhsa_next_free_sgpr 16
		.amdhsa_reserve_vcc 1
		.amdhsa_float_round_mode_32 0
		.amdhsa_float_round_mode_16_64 0
		.amdhsa_float_denorm_mode_32 3
		.amdhsa_float_denorm_mode_16_64 3
		.amdhsa_dx10_clamp 1
		.amdhsa_ieee_mode 1
		.amdhsa_fp16_overflow 0
		.amdhsa_workgroup_processor_mode 1
		.amdhsa_memory_ordered 1
		.amdhsa_forward_progress 0
		.amdhsa_shared_vgpr_count 0
		.amdhsa_exception_fp_ieee_invalid_op 0
		.amdhsa_exception_fp_denorm_src 0
		.amdhsa_exception_fp_ieee_div_zero 0
		.amdhsa_exception_fp_ieee_overflow 0
		.amdhsa_exception_fp_ieee_underflow 0
		.amdhsa_exception_fp_ieee_inexact 0
		.amdhsa_exception_int_div_zero 0
	.end_amdhsa_kernel
	.section	.text._Z11rank_kernelILj65ELj1ELj4ELb0EL18RadixRankAlgorithm1EdEvPKT4_Pijj,"axG",@progbits,_Z11rank_kernelILj65ELj1ELj4ELb0EL18RadixRankAlgorithm1EdEvPKT4_Pijj,comdat
.Lfunc_end44:
	.size	_Z11rank_kernelILj65ELj1ELj4ELb0EL18RadixRankAlgorithm1EdEvPKT4_Pijj, .Lfunc_end44-_Z11rank_kernelILj65ELj1ELj4ELb0EL18RadixRankAlgorithm1EdEvPKT4_Pijj
                                        ; -- End function
	.section	.AMDGPU.csdata,"",@progbits
; Kernel info:
; codeLenInByte = 1032
; NumSgprs: 18
; NumVgprs: 18
; ScratchSize: 0
; MemoryBound: 0
; FloatMode: 240
; IeeeMode: 1
; LDSByteSize: 2096 bytes/workgroup (compile time only)
; SGPRBlocks: 2
; VGPRBlocks: 2
; NumSGPRsForWavesPerEU: 18
; NumVGPRsForWavesPerEU: 18
; Occupancy: 16
; WaveLimiterHint : 0
; COMPUTE_PGM_RSRC2:SCRATCH_EN: 0
; COMPUTE_PGM_RSRC2:USER_SGPR: 15
; COMPUTE_PGM_RSRC2:TRAP_HANDLER: 0
; COMPUTE_PGM_RSRC2:TGID_X_EN: 1
; COMPUTE_PGM_RSRC2:TGID_Y_EN: 0
; COMPUTE_PGM_RSRC2:TGID_Z_EN: 0
; COMPUTE_PGM_RSRC2:TIDIG_COMP_CNT: 0
	.section	.text._Z11rank_kernelILj512ELj1ELj4ELb1EL18RadixRankAlgorithm1EtEvPKT4_Pijj,"axG",@progbits,_Z11rank_kernelILj512ELj1ELj4ELb1EL18RadixRankAlgorithm1EtEvPKT4_Pijj,comdat
	.protected	_Z11rank_kernelILj512ELj1ELj4ELb1EL18RadixRankAlgorithm1EtEvPKT4_Pijj ; -- Begin function _Z11rank_kernelILj512ELj1ELj4ELb1EL18RadixRankAlgorithm1EtEvPKT4_Pijj
	.globl	_Z11rank_kernelILj512ELj1ELj4ELb1EL18RadixRankAlgorithm1EtEvPKT4_Pijj
	.p2align	8
	.type	_Z11rank_kernelILj512ELj1ELj4ELb1EL18RadixRankAlgorithm1EtEvPKT4_Pijj,@function
_Z11rank_kernelILj512ELj1ELj4ELb1EL18RadixRankAlgorithm1EtEvPKT4_Pijj: ; @_Z11rank_kernelILj512ELj1ELj4ELb1EL18RadixRankAlgorithm1EtEvPKT4_Pijj
; %bb.0:
	s_load_b128 s[4:7], s[0:1], 0x0
	s_lshl_b32 s8, s15, 9
	s_mov_b32 s9, 0
	v_dual_mov_b32 v2, 0 :: v_dual_lshlrev_b32 v1, 1, v0
	s_lshl_b64 s[2:3], s[8:9], 1
	v_lshlrev_b32_e32 v3, 2, v0
	v_or_b32_e32 v4, 0xfffffe00, v0
	s_waitcnt lgkmcnt(0)
	s_add_u32 s2, s4, s2
	s_addc_u32 s3, s5, s3
	global_load_u16 v1, v1, s[2:3]
	s_mov_b32 s2, s9
.LBB45_1:                               ; =>This Inner Loop Header: Depth=1
	v_add_nc_u32_e32 v4, 0x200, v4
	ds_store_b32 v3, v2
	v_add_nc_u32_e32 v3, 0x800, v3
	v_cmp_lt_u32_e32 vcc_lo, 0xdff, v4
	s_or_b32 s2, vcc_lo, s2
	s_delay_alu instid0(SALU_CYCLE_1)
	s_and_not1_b32 exec_lo, exec_lo, s2
	s_cbranch_execnz .LBB45_1
; %bb.2:
	s_or_b32 exec_lo, exec_lo, s2
	s_load_b64 s[0:1], s[0:1], 0x10
	s_waitcnt vmcnt(0)
	v_and_b32_e32 v1, 0xffff, v1
	v_lshlrev_b32_e32 v11, 5, v0
	v_or_b32_e32 v15, 31, v0
	s_mov_b32 s4, exec_lo
	s_waitcnt lgkmcnt(0)
	s_and_b32 s1, s1, 31
	s_and_b32 s0, s0, 31
	s_delay_alu instid0(SALU_CYCLE_1) | instskip(NEXT) | instid1(SALU_CYCLE_1)
	s_add_i32 s0, s0, s1
	s_sub_i32 s0, 32, s0
	s_delay_alu instid0(SALU_CYCLE_1) | instskip(SKIP_3) | instid1(VALU_DEP_1)
	v_lshlrev_b32_e32 v1, s0, v1
	s_sub_i32 s0, 32, s1
	s_cmp_lg_u32 s1, 0
	s_cselect_b32 vcc_lo, -1, 0
	v_bfe_u32 v1, v1, s0, 16
	s_delay_alu instid0(VALU_DEP_1) | instskip(NEXT) | instid1(VALU_DEP_1)
	v_xor_b32_e32 v1, 15, v1
	v_cndmask_b32_e32 v1, 15, v1, vcc_lo
	s_delay_alu instid0(VALU_DEP_1) | instskip(NEXT) | instid1(VALU_DEP_1)
	v_lshlrev_b32_e32 v2, 9, v1
	v_and_or_b32 v2, 0xe00, v2, v0
	s_delay_alu instid0(VALU_DEP_1) | instskip(SKIP_1) | instid1(VALU_DEP_1)
	v_lshlrev_b32_e32 v2, 1, v2
	v_lshrrev_b32_e32 v1, 3, v1
	v_add_lshl_u32 v9, v2, v1, 1
	ds_load_u16 v10, v9
	s_waitcnt lgkmcnt(0)
	v_add_nc_u16 v1, v10, 1
	ds_store_b16 v9, v1
	s_waitcnt lgkmcnt(0)
	s_barrier
	buffer_gl0_inv
	ds_load_2addr_b32 v[7:8], v11 offset1:1
	ds_load_2addr_b32 v[5:6], v11 offset0:2 offset1:3
	ds_load_2addr_b32 v[1:2], v11 offset0:4 offset1:5
	;; [unrolled: 1-line block ×3, first 2 shown]
	s_waitcnt lgkmcnt(3)
	v_add_nc_u32_e32 v12, v8, v7
	s_waitcnt lgkmcnt(2)
	s_delay_alu instid0(VALU_DEP_1) | instskip(SKIP_1) | instid1(VALU_DEP_1)
	v_add3_u32 v12, v12, v5, v6
	s_waitcnt lgkmcnt(1)
	v_add3_u32 v13, v12, v1, v2
	v_mbcnt_lo_u32_b32 v12, -1, 0
	s_waitcnt lgkmcnt(0)
	s_delay_alu instid0(VALU_DEP_2) | instskip(NEXT) | instid1(VALU_DEP_2)
	v_add3_u32 v4, v13, v3, v4
	v_and_b32_e32 v13, 15, v12
	s_delay_alu instid0(VALU_DEP_2) | instskip(NEXT) | instid1(VALU_DEP_2)
	v_mov_b32_dpp v14, v4 row_shr:1 row_mask:0xf bank_mask:0xf
	v_cmp_eq_u32_e32 vcc_lo, 0, v13
	v_cmp_lt_u32_e64 s0, 1, v13
	v_cmp_lt_u32_e64 s1, 3, v13
	;; [unrolled: 1-line block ×3, first 2 shown]
	v_cndmask_b32_e64 v14, v14, 0, vcc_lo
	s_delay_alu instid0(VALU_DEP_1) | instskip(NEXT) | instid1(VALU_DEP_1)
	v_add_nc_u32_e32 v4, v14, v4
	v_mov_b32_dpp v14, v4 row_shr:2 row_mask:0xf bank_mask:0xf
	s_delay_alu instid0(VALU_DEP_1) | instskip(NEXT) | instid1(VALU_DEP_1)
	v_cndmask_b32_e64 v14, 0, v14, s0
	v_add_nc_u32_e32 v4, v4, v14
	s_delay_alu instid0(VALU_DEP_1) | instskip(NEXT) | instid1(VALU_DEP_1)
	v_mov_b32_dpp v14, v4 row_shr:4 row_mask:0xf bank_mask:0xf
	v_cndmask_b32_e64 v14, 0, v14, s1
	s_delay_alu instid0(VALU_DEP_1) | instskip(NEXT) | instid1(VALU_DEP_1)
	v_add_nc_u32_e32 v4, v4, v14
	v_mov_b32_dpp v14, v4 row_shr:8 row_mask:0xf bank_mask:0xf
	s_delay_alu instid0(VALU_DEP_1) | instskip(SKIP_1) | instid1(VALU_DEP_2)
	v_cndmask_b32_e64 v13, 0, v14, s2
	v_bfe_i32 v14, v12, 4, 1
	v_add_nc_u32_e32 v4, v4, v13
	ds_swizzle_b32 v13, v4 offset:swizzle(BROADCAST,32,15)
	s_waitcnt lgkmcnt(0)
	v_and_b32_e32 v13, v14, v13
	v_lshrrev_b32_e32 v14, 5, v0
	s_delay_alu instid0(VALU_DEP_2) | instskip(NEXT) | instid1(VALU_DEP_2)
	v_add_nc_u32_e32 v13, v4, v13
	v_lshlrev_b32_e32 v14, 2, v14
	v_cmpx_eq_u32_e64 v15, v0
	s_cbranch_execz .LBB45_4
; %bb.3:
	ds_store_b32 v14, v13 offset:16384
.LBB45_4:
	s_or_b32 exec_lo, exec_lo, s4
	v_lshlrev_b32_e32 v4, 2, v0
	s_mov_b32 s4, exec_lo
	s_waitcnt lgkmcnt(0)
	s_barrier
	buffer_gl0_inv
	v_cmpx_gt_u32_e32 16, v0
	s_cbranch_execz .LBB45_6
; %bb.5:
	ds_load_b32 v15, v4 offset:16384
	s_waitcnt lgkmcnt(0)
	v_mov_b32_dpp v16, v15 row_shr:1 row_mask:0xf bank_mask:0xf
	s_delay_alu instid0(VALU_DEP_1) | instskip(NEXT) | instid1(VALU_DEP_1)
	v_cndmask_b32_e64 v16, v16, 0, vcc_lo
	v_add_nc_u32_e32 v15, v16, v15
	s_delay_alu instid0(VALU_DEP_1) | instskip(NEXT) | instid1(VALU_DEP_1)
	v_mov_b32_dpp v16, v15 row_shr:2 row_mask:0xf bank_mask:0xf
	v_cndmask_b32_e64 v16, 0, v16, s0
	s_delay_alu instid0(VALU_DEP_1) | instskip(NEXT) | instid1(VALU_DEP_1)
	v_add_nc_u32_e32 v15, v15, v16
	v_mov_b32_dpp v16, v15 row_shr:4 row_mask:0xf bank_mask:0xf
	s_delay_alu instid0(VALU_DEP_1) | instskip(NEXT) | instid1(VALU_DEP_1)
	v_cndmask_b32_e64 v16, 0, v16, s1
	v_add_nc_u32_e32 v15, v15, v16
	s_delay_alu instid0(VALU_DEP_1) | instskip(NEXT) | instid1(VALU_DEP_1)
	v_mov_b32_dpp v16, v15 row_shr:8 row_mask:0xf bank_mask:0xf
	v_cndmask_b32_e64 v16, 0, v16, s2
	s_delay_alu instid0(VALU_DEP_1)
	v_add_nc_u32_e32 v15, v15, v16
	ds_store_b32 v4, v15 offset:16384
.LBB45_6:
	s_or_b32 exec_lo, exec_lo, s4
	v_cmp_lt_u32_e32 vcc_lo, 31, v0
	v_dual_mov_b32 v0, 0 :: v_dual_mov_b32 v15, 0
	s_waitcnt lgkmcnt(0)
	s_barrier
	buffer_gl0_inv
	s_and_saveexec_b32 s0, vcc_lo
	s_cbranch_execz .LBB45_8
; %bb.7:
	ds_load_b32 v15, v14 offset:16380
.LBB45_8:
	s_or_b32 exec_lo, exec_lo, s0
	v_add_nc_u32_e32 v14, -1, v12
	ds_load_b32 v0, v0 offset:16444
	s_lshl_b64 s[0:1], s[8:9], 2
	s_waitcnt lgkmcnt(1)
	v_add_nc_u32_e32 v13, v15, v13
	s_add_u32 s0, s6, s0
	v_cmp_gt_i32_e32 vcc_lo, 0, v14
	s_addc_u32 s1, s7, s1
	v_cndmask_b32_e32 v14, v14, v12, vcc_lo
	v_cmp_eq_u32_e32 vcc_lo, 0, v12
	s_delay_alu instid0(VALU_DEP_2) | instskip(SKIP_3) | instid1(VALU_DEP_1)
	v_lshlrev_b32_e32 v14, 2, v14
	ds_bpermute_b32 v13, v14, v13
	s_waitcnt lgkmcnt(0)
	v_cndmask_b32_e32 v12, v13, v15, vcc_lo
	v_lshl_add_u32 v0, v0, 16, v12
	s_delay_alu instid0(VALU_DEP_1) | instskip(NEXT) | instid1(VALU_DEP_1)
	v_add_nc_u32_e32 v7, v0, v7
	v_add_nc_u32_e32 v8, v7, v8
	s_delay_alu instid0(VALU_DEP_1) | instskip(NEXT) | instid1(VALU_DEP_1)
	v_add_nc_u32_e32 v5, v8, v5
	v_add_nc_u32_e32 v6, v5, v6
	;; [unrolled: 3-line block ×3, first 2 shown]
	s_delay_alu instid0(VALU_DEP_1)
	v_add_nc_u32_e32 v3, v2, v3
	ds_store_2addr_b32 v11, v0, v7 offset1:1
	ds_store_2addr_b32 v11, v8, v5 offset0:2 offset1:3
	ds_store_2addr_b32 v11, v6, v1 offset0:4 offset1:5
	;; [unrolled: 1-line block ×3, first 2 shown]
	s_waitcnt lgkmcnt(0)
	s_barrier
	buffer_gl0_inv
	ds_load_u16 v0, v9
	v_and_b32_e32 v1, 0xffff, v10
	s_waitcnt lgkmcnt(0)
	s_delay_alu instid0(VALU_DEP_1)
	v_add_nc_u32_e32 v0, v0, v1
	global_store_b32 v4, v0, s[0:1]
	s_nop 0
	s_sendmsg sendmsg(MSG_DEALLOC_VGPRS)
	s_endpgm
	.section	.rodata,"a",@progbits
	.p2align	6, 0x0
	.amdhsa_kernel _Z11rank_kernelILj512ELj1ELj4ELb1EL18RadixRankAlgorithm1EtEvPKT4_Pijj
		.amdhsa_group_segment_fixed_size 16448
		.amdhsa_private_segment_fixed_size 0
		.amdhsa_kernarg_size 24
		.amdhsa_user_sgpr_count 15
		.amdhsa_user_sgpr_dispatch_ptr 0
		.amdhsa_user_sgpr_queue_ptr 0
		.amdhsa_user_sgpr_kernarg_segment_ptr 1
		.amdhsa_user_sgpr_dispatch_id 0
		.amdhsa_user_sgpr_private_segment_size 0
		.amdhsa_wavefront_size32 1
		.amdhsa_uses_dynamic_stack 0
		.amdhsa_enable_private_segment 0
		.amdhsa_system_sgpr_workgroup_id_x 1
		.amdhsa_system_sgpr_workgroup_id_y 0
		.amdhsa_system_sgpr_workgroup_id_z 0
		.amdhsa_system_sgpr_workgroup_info 0
		.amdhsa_system_vgpr_workitem_id 0
		.amdhsa_next_free_vgpr 17
		.amdhsa_next_free_sgpr 16
		.amdhsa_reserve_vcc 1
		.amdhsa_float_round_mode_32 0
		.amdhsa_float_round_mode_16_64 0
		.amdhsa_float_denorm_mode_32 3
		.amdhsa_float_denorm_mode_16_64 3
		.amdhsa_dx10_clamp 1
		.amdhsa_ieee_mode 1
		.amdhsa_fp16_overflow 0
		.amdhsa_workgroup_processor_mode 1
		.amdhsa_memory_ordered 1
		.amdhsa_forward_progress 0
		.amdhsa_shared_vgpr_count 0
		.amdhsa_exception_fp_ieee_invalid_op 0
		.amdhsa_exception_fp_denorm_src 0
		.amdhsa_exception_fp_ieee_div_zero 0
		.amdhsa_exception_fp_ieee_overflow 0
		.amdhsa_exception_fp_ieee_underflow 0
		.amdhsa_exception_fp_ieee_inexact 0
		.amdhsa_exception_int_div_zero 0
	.end_amdhsa_kernel
	.section	.text._Z11rank_kernelILj512ELj1ELj4ELb1EL18RadixRankAlgorithm1EtEvPKT4_Pijj,"axG",@progbits,_Z11rank_kernelILj512ELj1ELj4ELb1EL18RadixRankAlgorithm1EtEvPKT4_Pijj,comdat
.Lfunc_end45:
	.size	_Z11rank_kernelILj512ELj1ELj4ELb1EL18RadixRankAlgorithm1EtEvPKT4_Pijj, .Lfunc_end45-_Z11rank_kernelILj512ELj1ELj4ELb1EL18RadixRankAlgorithm1EtEvPKT4_Pijj
                                        ; -- End function
	.section	.AMDGPU.csdata,"",@progbits
; Kernel info:
; codeLenInByte = 1012
; NumSgprs: 18
; NumVgprs: 17
; ScratchSize: 0
; MemoryBound: 0
; FloatMode: 240
; IeeeMode: 1
; LDSByteSize: 16448 bytes/workgroup (compile time only)
; SGPRBlocks: 2
; VGPRBlocks: 2
; NumSGPRsForWavesPerEU: 18
; NumVGPRsForWavesPerEU: 17
; Occupancy: 16
; WaveLimiterHint : 0
; COMPUTE_PGM_RSRC2:SCRATCH_EN: 0
; COMPUTE_PGM_RSRC2:USER_SGPR: 15
; COMPUTE_PGM_RSRC2:TRAP_HANDLER: 0
; COMPUTE_PGM_RSRC2:TGID_X_EN: 1
; COMPUTE_PGM_RSRC2:TGID_Y_EN: 0
; COMPUTE_PGM_RSRC2:TGID_Z_EN: 0
; COMPUTE_PGM_RSRC2:TIDIG_COMP_CNT: 0
	.section	.text._Z11rank_kernelILj256ELj1ELj4ELb0EL18RadixRankAlgorithm1EfEvPKT4_Pijj,"axG",@progbits,_Z11rank_kernelILj256ELj1ELj4ELb0EL18RadixRankAlgorithm1EfEvPKT4_Pijj,comdat
	.protected	_Z11rank_kernelILj256ELj1ELj4ELb0EL18RadixRankAlgorithm1EfEvPKT4_Pijj ; -- Begin function _Z11rank_kernelILj256ELj1ELj4ELb0EL18RadixRankAlgorithm1EfEvPKT4_Pijj
	.globl	_Z11rank_kernelILj256ELj1ELj4ELb0EL18RadixRankAlgorithm1EfEvPKT4_Pijj
	.p2align	8
	.type	_Z11rank_kernelILj256ELj1ELj4ELb0EL18RadixRankAlgorithm1EfEvPKT4_Pijj,@function
_Z11rank_kernelILj256ELj1ELj4ELb0EL18RadixRankAlgorithm1EfEvPKT4_Pijj: ; @_Z11rank_kernelILj256ELj1ELj4ELb0EL18RadixRankAlgorithm1EfEvPKT4_Pijj
; %bb.0:
	s_load_b128 s[4:7], s[0:1], 0x0
	s_lshl_b32 s8, s15, 8
	s_mov_b32 s9, 0
	v_dual_mov_b32 v3, 0 :: v_dual_lshlrev_b32 v2, 2, v0
	s_lshl_b64 s[2:3], s[8:9], 2
	v_or_b32_e32 v4, 0xffffff00, v0
	s_waitcnt lgkmcnt(0)
	s_add_u32 s4, s4, s2
	s_addc_u32 s5, s5, s3
	global_load_b32 v1, v2, s[4:5]
.LBB46_1:                               ; =>This Inner Loop Header: Depth=1
	v_add_nc_u32_e32 v4, 0x100, v4
	ds_store_b32 v2, v3
	v_add_nc_u32_e32 v2, 0x400, v2
	v_cmp_lt_u32_e32 vcc_lo, 0x6ff, v4
	s_or_b32 s9, vcc_lo, s9
	s_delay_alu instid0(SALU_CYCLE_1)
	s_and_not1_b32 exec_lo, exec_lo, s9
	s_cbranch_execnz .LBB46_1
; %bb.2:
	s_or_b32 exec_lo, exec_lo, s9
	s_load_b64 s[0:1], s[0:1], 0x10
	s_waitcnt vmcnt(0)
	v_cmp_lt_i32_e32 vcc_lo, -1, v1
	v_lshlrev_b32_e32 v11, 5, v0
	v_or_b32_e32 v15, 31, v0
	v_cndmask_b32_e64 v2, -1, 0x80000000, vcc_lo
	s_delay_alu instid0(VALU_DEP_1) | instskip(NEXT) | instid1(VALU_DEP_1)
	v_xor_b32_e32 v1, v2, v1
	v_cmp_ne_u32_e32 vcc_lo, 0x7fffffff, v1
	s_waitcnt lgkmcnt(0)
	s_and_b32 s1, s1, 31
	s_and_b32 s0, s0, 31
	v_cndmask_b32_e32 v1, 0x80000000, v1, vcc_lo
	s_add_i32 s0, s0, s1
	s_delay_alu instid0(SALU_CYCLE_1)
	s_sub_i32 s0, 32, s0
	s_delay_alu instid0(VALU_DEP_1) | instid1(SALU_CYCLE_1)
	v_lshlrev_b32_e32 v1, s0, v1
	s_sub_i32 s0, 32, s1
	s_cmp_lg_u32 s1, 0
	s_cselect_b32 vcc_lo, -1, 0
	s_delay_alu instid0(VALU_DEP_1) | instskip(SKIP_1) | instid1(VALU_DEP_1)
	v_lshrrev_b32_e32 v1, s0, v1
	s_mov_b32 s0, exec_lo
	v_cndmask_b32_e32 v1, 0, v1, vcc_lo
	s_delay_alu instid0(VALU_DEP_1) | instskip(SKIP_1) | instid1(VALU_DEP_2)
	v_lshlrev_b32_e32 v2, 8, v1
	v_lshrrev_b32_e32 v1, 3, v1
	v_and_or_b32 v2, 0x700, v2, v0
	s_delay_alu instid0(VALU_DEP_1) | instskip(NEXT) | instid1(VALU_DEP_1)
	v_lshlrev_b32_e32 v2, 1, v2
	v_add_lshl_u32 v9, v2, v1, 1
	ds_load_u16 v10, v9
	s_waitcnt lgkmcnt(0)
	v_add_nc_u16 v1, v10, 1
	ds_store_b16 v9, v1
	s_waitcnt lgkmcnt(0)
	s_barrier
	buffer_gl0_inv
	ds_load_2addr_b32 v[7:8], v11 offset1:1
	ds_load_2addr_b32 v[5:6], v11 offset0:2 offset1:3
	ds_load_2addr_b32 v[1:2], v11 offset0:4 offset1:5
	;; [unrolled: 1-line block ×3, first 2 shown]
	s_waitcnt lgkmcnt(3)
	v_add_nc_u32_e32 v12, v8, v7
	s_waitcnt lgkmcnt(2)
	s_delay_alu instid0(VALU_DEP_1) | instskip(SKIP_1) | instid1(VALU_DEP_1)
	v_add3_u32 v12, v12, v5, v6
	s_waitcnt lgkmcnt(1)
	v_add3_u32 v13, v12, v1, v2
	v_mbcnt_lo_u32_b32 v12, -1, 0
	s_waitcnt lgkmcnt(0)
	s_delay_alu instid0(VALU_DEP_2) | instskip(NEXT) | instid1(VALU_DEP_2)
	v_add3_u32 v4, v13, v3, v4
	v_and_b32_e32 v13, 15, v12
	s_delay_alu instid0(VALU_DEP_2) | instskip(NEXT) | instid1(VALU_DEP_2)
	v_mov_b32_dpp v14, v4 row_shr:1 row_mask:0xf bank_mask:0xf
	v_cmp_ne_u32_e32 vcc_lo, 0, v13
	s_delay_alu instid0(VALU_DEP_2) | instskip(SKIP_1) | instid1(VALU_DEP_2)
	v_cndmask_b32_e32 v14, 0, v14, vcc_lo
	v_cmp_lt_u32_e32 vcc_lo, 1, v13
	v_add_nc_u32_e32 v4, v14, v4
	s_delay_alu instid0(VALU_DEP_1) | instskip(NEXT) | instid1(VALU_DEP_1)
	v_mov_b32_dpp v14, v4 row_shr:2 row_mask:0xf bank_mask:0xf
	v_cndmask_b32_e32 v14, 0, v14, vcc_lo
	v_cmp_lt_u32_e32 vcc_lo, 3, v13
	s_delay_alu instid0(VALU_DEP_2) | instskip(NEXT) | instid1(VALU_DEP_1)
	v_add_nc_u32_e32 v4, v4, v14
	v_mov_b32_dpp v14, v4 row_shr:4 row_mask:0xf bank_mask:0xf
	s_delay_alu instid0(VALU_DEP_1) | instskip(SKIP_1) | instid1(VALU_DEP_2)
	v_cndmask_b32_e32 v14, 0, v14, vcc_lo
	v_cmp_lt_u32_e32 vcc_lo, 7, v13
	v_add_nc_u32_e32 v4, v4, v14
	s_delay_alu instid0(VALU_DEP_1) | instskip(NEXT) | instid1(VALU_DEP_1)
	v_mov_b32_dpp v14, v4 row_shr:8 row_mask:0xf bank_mask:0xf
	v_cndmask_b32_e32 v13, 0, v14, vcc_lo
	v_bfe_i32 v14, v12, 4, 1
	s_delay_alu instid0(VALU_DEP_2) | instskip(SKIP_4) | instid1(VALU_DEP_2)
	v_add_nc_u32_e32 v4, v4, v13
	ds_swizzle_b32 v13, v4 offset:swizzle(BROADCAST,32,15)
	s_waitcnt lgkmcnt(0)
	v_and_b32_e32 v13, v14, v13
	v_lshrrev_b32_e32 v14, 5, v0
	v_add_nc_u32_e32 v13, v4, v13
	s_delay_alu instid0(VALU_DEP_2)
	v_lshlrev_b32_e32 v14, 2, v14
	v_cmpx_eq_u32_e64 v15, v0
	s_cbranch_execz .LBB46_4
; %bb.3:
	ds_store_b32 v14, v13 offset:8192
.LBB46_4:
	s_or_b32 exec_lo, exec_lo, s0
	v_lshlrev_b32_e32 v4, 2, v0
	s_mov_b32 s0, exec_lo
	s_waitcnt lgkmcnt(0)
	s_barrier
	buffer_gl0_inv
	v_cmpx_gt_u32_e32 8, v0
	s_cbranch_execz .LBB46_6
; %bb.5:
	ds_load_b32 v15, v4 offset:8192
	s_waitcnt lgkmcnt(0)
	v_mov_b32_dpp v17, v15 row_shr:1 row_mask:0xf bank_mask:0xf
	v_and_b32_e32 v16, 7, v12
	s_delay_alu instid0(VALU_DEP_1) | instskip(NEXT) | instid1(VALU_DEP_3)
	v_cmp_ne_u32_e32 vcc_lo, 0, v16
	v_cndmask_b32_e32 v17, 0, v17, vcc_lo
	v_cmp_lt_u32_e32 vcc_lo, 1, v16
	s_delay_alu instid0(VALU_DEP_2) | instskip(NEXT) | instid1(VALU_DEP_1)
	v_add_nc_u32_e32 v15, v17, v15
	v_mov_b32_dpp v17, v15 row_shr:2 row_mask:0xf bank_mask:0xf
	s_delay_alu instid0(VALU_DEP_1) | instskip(SKIP_1) | instid1(VALU_DEP_2)
	v_cndmask_b32_e32 v17, 0, v17, vcc_lo
	v_cmp_lt_u32_e32 vcc_lo, 3, v16
	v_add_nc_u32_e32 v15, v15, v17
	s_delay_alu instid0(VALU_DEP_1) | instskip(NEXT) | instid1(VALU_DEP_1)
	v_mov_b32_dpp v17, v15 row_shr:4 row_mask:0xf bank_mask:0xf
	v_cndmask_b32_e32 v16, 0, v17, vcc_lo
	s_delay_alu instid0(VALU_DEP_1)
	v_add_nc_u32_e32 v15, v15, v16
	ds_store_b32 v4, v15 offset:8192
.LBB46_6:
	s_or_b32 exec_lo, exec_lo, s0
	v_cmp_lt_u32_e32 vcc_lo, 31, v0
	v_dual_mov_b32 v0, 0 :: v_dual_mov_b32 v15, 0
	s_waitcnt lgkmcnt(0)
	s_barrier
	buffer_gl0_inv
	s_and_saveexec_b32 s0, vcc_lo
	s_cbranch_execz .LBB46_8
; %bb.7:
	ds_load_b32 v15, v14 offset:8188
.LBB46_8:
	s_or_b32 exec_lo, exec_lo, s0
	v_add_nc_u32_e32 v14, -1, v12
	ds_load_b32 v0, v0 offset:8220
	s_add_u32 s0, s6, s2
	s_addc_u32 s1, s7, s3
	s_waitcnt lgkmcnt(1)
	v_add_nc_u32_e32 v13, v15, v13
	v_cmp_gt_i32_e32 vcc_lo, 0, v14
	v_cndmask_b32_e32 v14, v14, v12, vcc_lo
	v_cmp_eq_u32_e32 vcc_lo, 0, v12
	s_delay_alu instid0(VALU_DEP_2) | instskip(SKIP_3) | instid1(VALU_DEP_1)
	v_lshlrev_b32_e32 v14, 2, v14
	ds_bpermute_b32 v13, v14, v13
	s_waitcnt lgkmcnt(0)
	v_cndmask_b32_e32 v12, v13, v15, vcc_lo
	v_lshl_add_u32 v0, v0, 16, v12
	s_delay_alu instid0(VALU_DEP_1) | instskip(NEXT) | instid1(VALU_DEP_1)
	v_add_nc_u32_e32 v7, v0, v7
	v_add_nc_u32_e32 v8, v7, v8
	s_delay_alu instid0(VALU_DEP_1) | instskip(NEXT) | instid1(VALU_DEP_1)
	v_add_nc_u32_e32 v5, v8, v5
	v_add_nc_u32_e32 v6, v5, v6
	;; [unrolled: 3-line block ×3, first 2 shown]
	s_delay_alu instid0(VALU_DEP_1)
	v_add_nc_u32_e32 v3, v2, v3
	ds_store_2addr_b32 v11, v0, v7 offset1:1
	ds_store_2addr_b32 v11, v8, v5 offset0:2 offset1:3
	ds_store_2addr_b32 v11, v6, v1 offset0:4 offset1:5
	;; [unrolled: 1-line block ×3, first 2 shown]
	s_waitcnt lgkmcnt(0)
	s_barrier
	buffer_gl0_inv
	ds_load_u16 v0, v9
	v_and_b32_e32 v1, 0xffff, v10
	s_waitcnt lgkmcnt(0)
	s_delay_alu instid0(VALU_DEP_1)
	v_add_nc_u32_e32 v0, v0, v1
	global_store_b32 v4, v0, s[0:1]
	s_nop 0
	s_sendmsg sendmsg(MSG_DEALLOC_VGPRS)
	s_endpgm
	.section	.rodata,"a",@progbits
	.p2align	6, 0x0
	.amdhsa_kernel _Z11rank_kernelILj256ELj1ELj4ELb0EL18RadixRankAlgorithm1EfEvPKT4_Pijj
		.amdhsa_group_segment_fixed_size 8224
		.amdhsa_private_segment_fixed_size 0
		.amdhsa_kernarg_size 24
		.amdhsa_user_sgpr_count 15
		.amdhsa_user_sgpr_dispatch_ptr 0
		.amdhsa_user_sgpr_queue_ptr 0
		.amdhsa_user_sgpr_kernarg_segment_ptr 1
		.amdhsa_user_sgpr_dispatch_id 0
		.amdhsa_user_sgpr_private_segment_size 0
		.amdhsa_wavefront_size32 1
		.amdhsa_uses_dynamic_stack 0
		.amdhsa_enable_private_segment 0
		.amdhsa_system_sgpr_workgroup_id_x 1
		.amdhsa_system_sgpr_workgroup_id_y 0
		.amdhsa_system_sgpr_workgroup_id_z 0
		.amdhsa_system_sgpr_workgroup_info 0
		.amdhsa_system_vgpr_workitem_id 0
		.amdhsa_next_free_vgpr 18
		.amdhsa_next_free_sgpr 16
		.amdhsa_reserve_vcc 1
		.amdhsa_float_round_mode_32 0
		.amdhsa_float_round_mode_16_64 0
		.amdhsa_float_denorm_mode_32 3
		.amdhsa_float_denorm_mode_16_64 3
		.amdhsa_dx10_clamp 1
		.amdhsa_ieee_mode 1
		.amdhsa_fp16_overflow 0
		.amdhsa_workgroup_processor_mode 1
		.amdhsa_memory_ordered 1
		.amdhsa_forward_progress 0
		.amdhsa_shared_vgpr_count 0
		.amdhsa_exception_fp_ieee_invalid_op 0
		.amdhsa_exception_fp_denorm_src 0
		.amdhsa_exception_fp_ieee_div_zero 0
		.amdhsa_exception_fp_ieee_overflow 0
		.amdhsa_exception_fp_ieee_underflow 0
		.amdhsa_exception_fp_ieee_inexact 0
		.amdhsa_exception_int_div_zero 0
	.end_amdhsa_kernel
	.section	.text._Z11rank_kernelILj256ELj1ELj4ELb0EL18RadixRankAlgorithm1EfEvPKT4_Pijj,"axG",@progbits,_Z11rank_kernelILj256ELj1ELj4ELb0EL18RadixRankAlgorithm1EfEvPKT4_Pijj,comdat
.Lfunc_end46:
	.size	_Z11rank_kernelILj256ELj1ELj4ELb0EL18RadixRankAlgorithm1EfEvPKT4_Pijj, .Lfunc_end46-_Z11rank_kernelILj256ELj1ELj4ELb0EL18RadixRankAlgorithm1EfEvPKT4_Pijj
                                        ; -- End function
	.section	.AMDGPU.csdata,"",@progbits
; Kernel info:
; codeLenInByte = 980
; NumSgprs: 18
; NumVgprs: 18
; ScratchSize: 0
; MemoryBound: 0
; FloatMode: 240
; IeeeMode: 1
; LDSByteSize: 8224 bytes/workgroup (compile time only)
; SGPRBlocks: 2
; VGPRBlocks: 2
; NumSGPRsForWavesPerEU: 18
; NumVGPRsForWavesPerEU: 18
; Occupancy: 16
; WaveLimiterHint : 0
; COMPUTE_PGM_RSRC2:SCRATCH_EN: 0
; COMPUTE_PGM_RSRC2:USER_SGPR: 15
; COMPUTE_PGM_RSRC2:TRAP_HANDLER: 0
; COMPUTE_PGM_RSRC2:TGID_X_EN: 1
; COMPUTE_PGM_RSRC2:TGID_Y_EN: 0
; COMPUTE_PGM_RSRC2:TGID_Z_EN: 0
; COMPUTE_PGM_RSRC2:TIDIG_COMP_CNT: 0
	.section	.text._Z11rank_kernelILj128ELj1ELj4ELb0EL18RadixRankAlgorithm1E12hip_bfloat16EvPKT4_Pijj,"axG",@progbits,_Z11rank_kernelILj128ELj1ELj4ELb0EL18RadixRankAlgorithm1E12hip_bfloat16EvPKT4_Pijj,comdat
	.protected	_Z11rank_kernelILj128ELj1ELj4ELb0EL18RadixRankAlgorithm1E12hip_bfloat16EvPKT4_Pijj ; -- Begin function _Z11rank_kernelILj128ELj1ELj4ELb0EL18RadixRankAlgorithm1E12hip_bfloat16EvPKT4_Pijj
	.globl	_Z11rank_kernelILj128ELj1ELj4ELb0EL18RadixRankAlgorithm1E12hip_bfloat16EvPKT4_Pijj
	.p2align	8
	.type	_Z11rank_kernelILj128ELj1ELj4ELb0EL18RadixRankAlgorithm1E12hip_bfloat16EvPKT4_Pijj,@function
_Z11rank_kernelILj128ELj1ELj4ELb0EL18RadixRankAlgorithm1E12hip_bfloat16EvPKT4_Pijj: ; @_Z11rank_kernelILj128ELj1ELj4ELb0EL18RadixRankAlgorithm1E12hip_bfloat16EvPKT4_Pijj
; %bb.0:
	s_load_b128 s[4:7], s[0:1], 0x0
	s_lshl_b32 s2, s15, 7
	s_mov_b32 s3, 0
	v_dual_mov_b32 v2, 0 :: v_dual_lshlrev_b32 v1, 1, v0
	s_lshl_b64 s[8:9], s[2:3], 1
	v_lshlrev_b32_e32 v3, 2, v0
	v_or_b32_e32 v4, 0xffffff80, v0
	s_waitcnt lgkmcnt(0)
	s_add_u32 s4, s4, s8
	s_addc_u32 s5, s5, s9
	global_load_u16 v1, v1, s[4:5]
	s_mov_b32 s4, s3
.LBB47_1:                               ; =>This Inner Loop Header: Depth=1
	v_add_nc_u32_e32 v4, 0x80, v4
	ds_store_b32 v3, v2
	v_add_nc_u32_e32 v3, 0x200, v3
	v_cmp_lt_u32_e32 vcc_lo, 0x37f, v4
	s_or_b32 s4, vcc_lo, s4
	s_delay_alu instid0(SALU_CYCLE_1)
	s_and_not1_b32 exec_lo, exec_lo, s4
	s_cbranch_execnz .LBB47_1
; %bb.2:
	s_or_b32 exec_lo, exec_lo, s4
	s_waitcnt vmcnt(0)
	v_cmp_lt_i16_e32 vcc_lo, -1, v1
	s_load_b64 s[0:1], s[0:1], 0x10
	v_lshlrev_b32_e32 v11, 5, v0
	v_or_b32_e32 v15, 31, v0
	v_cndmask_b32_e64 v2, -1, 0xffff8000, vcc_lo
	s_delay_alu instid0(VALU_DEP_1) | instskip(NEXT) | instid1(VALU_DEP_1)
	v_xor_b32_e32 v1, v2, v1
	v_cmp_ne_u16_e32 vcc_lo, 0x7fff, v1
	v_cndmask_b32_e32 v1, 0xffff8000, v1, vcc_lo
	s_waitcnt lgkmcnt(0)
	s_and_b32 s1, s1, 31
	s_and_b32 s0, s0, 31
	s_delay_alu instid0(SALU_CYCLE_1)
	s_add_i32 s0, s0, s1
	v_and_b32_e32 v1, 0xffff, v1
	s_sub_i32 s0, 32, s0
	s_delay_alu instid0(VALU_DEP_1) | instid1(SALU_CYCLE_1)
	v_lshlrev_b32_e32 v1, s0, v1
	s_sub_i32 s0, 32, s1
	s_cmp_lg_u32 s1, 0
	s_cselect_b32 vcc_lo, -1, 0
	s_delay_alu instid0(VALU_DEP_1) | instskip(SKIP_1) | instid1(VALU_DEP_1)
	v_bfe_u32 v1, v1, s0, 16
	s_mov_b32 s0, exec_lo
	v_cndmask_b32_e32 v1, 0, v1, vcc_lo
	s_delay_alu instid0(VALU_DEP_1) | instskip(SKIP_1) | instid1(VALU_DEP_2)
	v_lshlrev_b32_e32 v2, 7, v1
	v_lshrrev_b32_e32 v1, 3, v1
	v_and_or_b32 v2, 0x380, v2, v0
	s_delay_alu instid0(VALU_DEP_1) | instskip(NEXT) | instid1(VALU_DEP_1)
	v_lshlrev_b32_e32 v2, 1, v2
	v_add_lshl_u32 v9, v2, v1, 1
	ds_load_u16 v10, v9
	s_waitcnt lgkmcnt(0)
	v_add_nc_u16 v1, v10, 1
	ds_store_b16 v9, v1
	s_waitcnt lgkmcnt(0)
	s_barrier
	buffer_gl0_inv
	ds_load_2addr_b32 v[7:8], v11 offset1:1
	ds_load_2addr_b32 v[5:6], v11 offset0:2 offset1:3
	ds_load_2addr_b32 v[1:2], v11 offset0:4 offset1:5
	;; [unrolled: 1-line block ×3, first 2 shown]
	s_waitcnt lgkmcnt(3)
	v_add_nc_u32_e32 v12, v8, v7
	s_waitcnt lgkmcnt(2)
	s_delay_alu instid0(VALU_DEP_1) | instskip(SKIP_1) | instid1(VALU_DEP_1)
	v_add3_u32 v12, v12, v5, v6
	s_waitcnt lgkmcnt(1)
	v_add3_u32 v13, v12, v1, v2
	v_mbcnt_lo_u32_b32 v12, -1, 0
	s_waitcnt lgkmcnt(0)
	s_delay_alu instid0(VALU_DEP_2) | instskip(NEXT) | instid1(VALU_DEP_2)
	v_add3_u32 v4, v13, v3, v4
	v_and_b32_e32 v13, 15, v12
	s_delay_alu instid0(VALU_DEP_2) | instskip(NEXT) | instid1(VALU_DEP_2)
	v_mov_b32_dpp v14, v4 row_shr:1 row_mask:0xf bank_mask:0xf
	v_cmp_ne_u32_e32 vcc_lo, 0, v13
	s_delay_alu instid0(VALU_DEP_2) | instskip(SKIP_1) | instid1(VALU_DEP_2)
	v_cndmask_b32_e32 v14, 0, v14, vcc_lo
	v_cmp_lt_u32_e32 vcc_lo, 1, v13
	v_add_nc_u32_e32 v4, v14, v4
	s_delay_alu instid0(VALU_DEP_1) | instskip(NEXT) | instid1(VALU_DEP_1)
	v_mov_b32_dpp v14, v4 row_shr:2 row_mask:0xf bank_mask:0xf
	v_cndmask_b32_e32 v14, 0, v14, vcc_lo
	v_cmp_lt_u32_e32 vcc_lo, 3, v13
	s_delay_alu instid0(VALU_DEP_2) | instskip(NEXT) | instid1(VALU_DEP_1)
	v_add_nc_u32_e32 v4, v4, v14
	v_mov_b32_dpp v14, v4 row_shr:4 row_mask:0xf bank_mask:0xf
	s_delay_alu instid0(VALU_DEP_1) | instskip(SKIP_1) | instid1(VALU_DEP_2)
	v_cndmask_b32_e32 v14, 0, v14, vcc_lo
	v_cmp_lt_u32_e32 vcc_lo, 7, v13
	v_add_nc_u32_e32 v4, v4, v14
	s_delay_alu instid0(VALU_DEP_1) | instskip(NEXT) | instid1(VALU_DEP_1)
	v_mov_b32_dpp v14, v4 row_shr:8 row_mask:0xf bank_mask:0xf
	v_cndmask_b32_e32 v13, 0, v14, vcc_lo
	v_bfe_i32 v14, v12, 4, 1
	s_delay_alu instid0(VALU_DEP_2) | instskip(SKIP_4) | instid1(VALU_DEP_2)
	v_add_nc_u32_e32 v4, v4, v13
	ds_swizzle_b32 v13, v4 offset:swizzle(BROADCAST,32,15)
	s_waitcnt lgkmcnt(0)
	v_and_b32_e32 v13, v14, v13
	v_lshrrev_b32_e32 v14, 5, v0
	v_add_nc_u32_e32 v13, v4, v13
	s_delay_alu instid0(VALU_DEP_2)
	v_lshlrev_b32_e32 v14, 2, v14
	v_cmpx_eq_u32_e64 v15, v0
	s_cbranch_execz .LBB47_4
; %bb.3:
	ds_store_b32 v14, v13 offset:4096
.LBB47_4:
	s_or_b32 exec_lo, exec_lo, s0
	v_lshlrev_b32_e32 v4, 2, v0
	s_mov_b32 s0, exec_lo
	s_waitcnt lgkmcnt(0)
	s_barrier
	buffer_gl0_inv
	v_cmpx_gt_u32_e32 4, v0
	s_cbranch_execz .LBB47_6
; %bb.5:
	ds_load_b32 v15, v4 offset:4096
	s_waitcnt lgkmcnt(0)
	v_mov_b32_dpp v17, v15 row_shr:1 row_mask:0xf bank_mask:0xf
	v_and_b32_e32 v16, 3, v12
	s_delay_alu instid0(VALU_DEP_1) | instskip(NEXT) | instid1(VALU_DEP_3)
	v_cmp_ne_u32_e32 vcc_lo, 0, v16
	v_cndmask_b32_e32 v17, 0, v17, vcc_lo
	v_cmp_lt_u32_e32 vcc_lo, 1, v16
	s_delay_alu instid0(VALU_DEP_2) | instskip(NEXT) | instid1(VALU_DEP_1)
	v_add_nc_u32_e32 v15, v17, v15
	v_mov_b32_dpp v17, v15 row_shr:2 row_mask:0xf bank_mask:0xf
	s_delay_alu instid0(VALU_DEP_1) | instskip(NEXT) | instid1(VALU_DEP_1)
	v_cndmask_b32_e32 v16, 0, v17, vcc_lo
	v_add_nc_u32_e32 v15, v15, v16
	ds_store_b32 v4, v15 offset:4096
.LBB47_6:
	s_or_b32 exec_lo, exec_lo, s0
	v_cmp_lt_u32_e32 vcc_lo, 31, v0
	v_dual_mov_b32 v0, 0 :: v_dual_mov_b32 v15, 0
	s_waitcnt lgkmcnt(0)
	s_barrier
	buffer_gl0_inv
	s_and_saveexec_b32 s0, vcc_lo
	s_cbranch_execz .LBB47_8
; %bb.7:
	ds_load_b32 v15, v14 offset:4092
.LBB47_8:
	s_or_b32 exec_lo, exec_lo, s0
	v_add_nc_u32_e32 v14, -1, v12
	ds_load_b32 v0, v0 offset:4108
	s_lshl_b64 s[0:1], s[2:3], 2
	s_waitcnt lgkmcnt(1)
	v_add_nc_u32_e32 v13, v15, v13
	s_add_u32 s0, s6, s0
	v_cmp_gt_i32_e32 vcc_lo, 0, v14
	s_addc_u32 s1, s7, s1
	v_cndmask_b32_e32 v14, v14, v12, vcc_lo
	v_cmp_eq_u32_e32 vcc_lo, 0, v12
	s_delay_alu instid0(VALU_DEP_2) | instskip(SKIP_3) | instid1(VALU_DEP_1)
	v_lshlrev_b32_e32 v14, 2, v14
	ds_bpermute_b32 v13, v14, v13
	s_waitcnt lgkmcnt(0)
	v_cndmask_b32_e32 v12, v13, v15, vcc_lo
	v_lshl_add_u32 v0, v0, 16, v12
	s_delay_alu instid0(VALU_DEP_1) | instskip(NEXT) | instid1(VALU_DEP_1)
	v_add_nc_u32_e32 v7, v0, v7
	v_add_nc_u32_e32 v8, v7, v8
	s_delay_alu instid0(VALU_DEP_1) | instskip(NEXT) | instid1(VALU_DEP_1)
	v_add_nc_u32_e32 v5, v8, v5
	v_add_nc_u32_e32 v6, v5, v6
	;; [unrolled: 3-line block ×3, first 2 shown]
	s_delay_alu instid0(VALU_DEP_1)
	v_add_nc_u32_e32 v3, v2, v3
	ds_store_2addr_b32 v11, v0, v7 offset1:1
	ds_store_2addr_b32 v11, v8, v5 offset0:2 offset1:3
	ds_store_2addr_b32 v11, v6, v1 offset0:4 offset1:5
	;; [unrolled: 1-line block ×3, first 2 shown]
	s_waitcnt lgkmcnt(0)
	s_barrier
	buffer_gl0_inv
	ds_load_u16 v0, v9
	v_and_b32_e32 v1, 0xffff, v10
	s_waitcnt lgkmcnt(0)
	s_delay_alu instid0(VALU_DEP_1)
	v_add_nc_u32_e32 v0, v0, v1
	global_store_b32 v4, v0, s[0:1]
	s_nop 0
	s_sendmsg sendmsg(MSG_DEALLOC_VGPRS)
	s_endpgm
	.section	.rodata,"a",@progbits
	.p2align	6, 0x0
	.amdhsa_kernel _Z11rank_kernelILj128ELj1ELj4ELb0EL18RadixRankAlgorithm1E12hip_bfloat16EvPKT4_Pijj
		.amdhsa_group_segment_fixed_size 4112
		.amdhsa_private_segment_fixed_size 0
		.amdhsa_kernarg_size 24
		.amdhsa_user_sgpr_count 15
		.amdhsa_user_sgpr_dispatch_ptr 0
		.amdhsa_user_sgpr_queue_ptr 0
		.amdhsa_user_sgpr_kernarg_segment_ptr 1
		.amdhsa_user_sgpr_dispatch_id 0
		.amdhsa_user_sgpr_private_segment_size 0
		.amdhsa_wavefront_size32 1
		.amdhsa_uses_dynamic_stack 0
		.amdhsa_enable_private_segment 0
		.amdhsa_system_sgpr_workgroup_id_x 1
		.amdhsa_system_sgpr_workgroup_id_y 0
		.amdhsa_system_sgpr_workgroup_id_z 0
		.amdhsa_system_sgpr_workgroup_info 0
		.amdhsa_system_vgpr_workitem_id 0
		.amdhsa_next_free_vgpr 18
		.amdhsa_next_free_sgpr 16
		.amdhsa_reserve_vcc 1
		.amdhsa_float_round_mode_32 0
		.amdhsa_float_round_mode_16_64 0
		.amdhsa_float_denorm_mode_32 3
		.amdhsa_float_denorm_mode_16_64 3
		.amdhsa_dx10_clamp 1
		.amdhsa_ieee_mode 1
		.amdhsa_fp16_overflow 0
		.amdhsa_workgroup_processor_mode 1
		.amdhsa_memory_ordered 1
		.amdhsa_forward_progress 0
		.amdhsa_shared_vgpr_count 0
		.amdhsa_exception_fp_ieee_invalid_op 0
		.amdhsa_exception_fp_denorm_src 0
		.amdhsa_exception_fp_ieee_div_zero 0
		.amdhsa_exception_fp_ieee_overflow 0
		.amdhsa_exception_fp_ieee_underflow 0
		.amdhsa_exception_fp_ieee_inexact 0
		.amdhsa_exception_int_div_zero 0
	.end_amdhsa_kernel
	.section	.text._Z11rank_kernelILj128ELj1ELj4ELb0EL18RadixRankAlgorithm1E12hip_bfloat16EvPKT4_Pijj,"axG",@progbits,_Z11rank_kernelILj128ELj1ELj4ELb0EL18RadixRankAlgorithm1E12hip_bfloat16EvPKT4_Pijj,comdat
.Lfunc_end47:
	.size	_Z11rank_kernelILj128ELj1ELj4ELb0EL18RadixRankAlgorithm1E12hip_bfloat16EvPKT4_Pijj, .Lfunc_end47-_Z11rank_kernelILj128ELj1ELj4ELb0EL18RadixRankAlgorithm1E12hip_bfloat16EvPKT4_Pijj
                                        ; -- End function
	.section	.AMDGPU.csdata,"",@progbits
; Kernel info:
; codeLenInByte = 976
; NumSgprs: 18
; NumVgprs: 18
; ScratchSize: 0
; MemoryBound: 0
; FloatMode: 240
; IeeeMode: 1
; LDSByteSize: 4112 bytes/workgroup (compile time only)
; SGPRBlocks: 2
; VGPRBlocks: 2
; NumSGPRsForWavesPerEU: 18
; NumVGPRsForWavesPerEU: 18
; Occupancy: 16
; WaveLimiterHint : 0
; COMPUTE_PGM_RSRC2:SCRATCH_EN: 0
; COMPUTE_PGM_RSRC2:USER_SGPR: 15
; COMPUTE_PGM_RSRC2:TRAP_HANDLER: 0
; COMPUTE_PGM_RSRC2:TGID_X_EN: 1
; COMPUTE_PGM_RSRC2:TGID_Y_EN: 0
; COMPUTE_PGM_RSRC2:TGID_Z_EN: 0
; COMPUTE_PGM_RSRC2:TIDIG_COMP_CNT: 0
	.section	.text._Z11rank_kernelILj128ELj1ELj4ELb0EL18RadixRankAlgorithm1E6__halfEvPKT4_Pijj,"axG",@progbits,_Z11rank_kernelILj128ELj1ELj4ELb0EL18RadixRankAlgorithm1E6__halfEvPKT4_Pijj,comdat
	.protected	_Z11rank_kernelILj128ELj1ELj4ELb0EL18RadixRankAlgorithm1E6__halfEvPKT4_Pijj ; -- Begin function _Z11rank_kernelILj128ELj1ELj4ELb0EL18RadixRankAlgorithm1E6__halfEvPKT4_Pijj
	.globl	_Z11rank_kernelILj128ELj1ELj4ELb0EL18RadixRankAlgorithm1E6__halfEvPKT4_Pijj
	.p2align	8
	.type	_Z11rank_kernelILj128ELj1ELj4ELb0EL18RadixRankAlgorithm1E6__halfEvPKT4_Pijj,@function
_Z11rank_kernelILj128ELj1ELj4ELb0EL18RadixRankAlgorithm1E6__halfEvPKT4_Pijj: ; @_Z11rank_kernelILj128ELj1ELj4ELb0EL18RadixRankAlgorithm1E6__halfEvPKT4_Pijj
; %bb.0:
	s_load_b128 s[4:7], s[0:1], 0x0
	s_lshl_b32 s2, s15, 7
	s_mov_b32 s3, 0
	v_dual_mov_b32 v2, 0 :: v_dual_lshlrev_b32 v1, 1, v0
	s_lshl_b64 s[8:9], s[2:3], 1
	v_lshlrev_b32_e32 v3, 2, v0
	v_or_b32_e32 v4, 0xffffff80, v0
	s_waitcnt lgkmcnt(0)
	s_add_u32 s4, s4, s8
	s_addc_u32 s5, s5, s9
	global_load_u16 v1, v1, s[4:5]
	s_mov_b32 s4, s3
.LBB48_1:                               ; =>This Inner Loop Header: Depth=1
	v_add_nc_u32_e32 v4, 0x80, v4
	ds_store_b32 v3, v2
	v_add_nc_u32_e32 v3, 0x200, v3
	v_cmp_lt_u32_e32 vcc_lo, 0x37f, v4
	s_or_b32 s4, vcc_lo, s4
	s_delay_alu instid0(SALU_CYCLE_1)
	s_and_not1_b32 exec_lo, exec_lo, s4
	s_cbranch_execnz .LBB48_1
; %bb.2:
	s_or_b32 exec_lo, exec_lo, s4
	s_waitcnt vmcnt(0)
	v_cmp_lt_i16_e32 vcc_lo, -1, v1
	s_load_b64 s[0:1], s[0:1], 0x10
	v_lshlrev_b32_e32 v11, 5, v0
	v_or_b32_e32 v15, 31, v0
	v_cndmask_b32_e64 v2, -1, 0xffff8000, vcc_lo
	s_delay_alu instid0(VALU_DEP_1) | instskip(NEXT) | instid1(VALU_DEP_1)
	v_xor_b32_e32 v1, v2, v1
	v_cmp_ne_u16_e32 vcc_lo, 0x7fff, v1
	v_cndmask_b32_e32 v1, 0xffff8000, v1, vcc_lo
	s_waitcnt lgkmcnt(0)
	s_and_b32 s1, s1, 31
	s_and_b32 s0, s0, 31
	s_delay_alu instid0(SALU_CYCLE_1)
	s_add_i32 s0, s0, s1
	v_and_b32_e32 v1, 0xffff, v1
	s_sub_i32 s0, 32, s0
	s_delay_alu instid0(VALU_DEP_1) | instid1(SALU_CYCLE_1)
	v_lshlrev_b32_e32 v1, s0, v1
	s_sub_i32 s0, 32, s1
	s_cmp_lg_u32 s1, 0
	s_cselect_b32 vcc_lo, -1, 0
	s_delay_alu instid0(VALU_DEP_1) | instskip(SKIP_1) | instid1(VALU_DEP_1)
	v_bfe_u32 v1, v1, s0, 16
	s_mov_b32 s0, exec_lo
	v_cndmask_b32_e32 v1, 0, v1, vcc_lo
	s_delay_alu instid0(VALU_DEP_1) | instskip(SKIP_1) | instid1(VALU_DEP_2)
	v_lshlrev_b32_e32 v2, 7, v1
	v_lshrrev_b32_e32 v1, 3, v1
	v_and_or_b32 v2, 0x380, v2, v0
	s_delay_alu instid0(VALU_DEP_1) | instskip(NEXT) | instid1(VALU_DEP_1)
	v_lshlrev_b32_e32 v2, 1, v2
	v_add_lshl_u32 v9, v2, v1, 1
	ds_load_u16 v10, v9
	s_waitcnt lgkmcnt(0)
	v_add_nc_u16 v1, v10, 1
	ds_store_b16 v9, v1
	s_waitcnt lgkmcnt(0)
	s_barrier
	buffer_gl0_inv
	ds_load_2addr_b32 v[7:8], v11 offset1:1
	ds_load_2addr_b32 v[5:6], v11 offset0:2 offset1:3
	ds_load_2addr_b32 v[1:2], v11 offset0:4 offset1:5
	;; [unrolled: 1-line block ×3, first 2 shown]
	s_waitcnt lgkmcnt(3)
	v_add_nc_u32_e32 v12, v8, v7
	s_waitcnt lgkmcnt(2)
	s_delay_alu instid0(VALU_DEP_1) | instskip(SKIP_1) | instid1(VALU_DEP_1)
	v_add3_u32 v12, v12, v5, v6
	s_waitcnt lgkmcnt(1)
	v_add3_u32 v13, v12, v1, v2
	v_mbcnt_lo_u32_b32 v12, -1, 0
	s_waitcnt lgkmcnt(0)
	s_delay_alu instid0(VALU_DEP_2) | instskip(NEXT) | instid1(VALU_DEP_2)
	v_add3_u32 v4, v13, v3, v4
	v_and_b32_e32 v13, 15, v12
	s_delay_alu instid0(VALU_DEP_2) | instskip(NEXT) | instid1(VALU_DEP_2)
	v_mov_b32_dpp v14, v4 row_shr:1 row_mask:0xf bank_mask:0xf
	v_cmp_ne_u32_e32 vcc_lo, 0, v13
	s_delay_alu instid0(VALU_DEP_2) | instskip(SKIP_1) | instid1(VALU_DEP_2)
	v_cndmask_b32_e32 v14, 0, v14, vcc_lo
	v_cmp_lt_u32_e32 vcc_lo, 1, v13
	v_add_nc_u32_e32 v4, v14, v4
	s_delay_alu instid0(VALU_DEP_1) | instskip(NEXT) | instid1(VALU_DEP_1)
	v_mov_b32_dpp v14, v4 row_shr:2 row_mask:0xf bank_mask:0xf
	v_cndmask_b32_e32 v14, 0, v14, vcc_lo
	v_cmp_lt_u32_e32 vcc_lo, 3, v13
	s_delay_alu instid0(VALU_DEP_2) | instskip(NEXT) | instid1(VALU_DEP_1)
	v_add_nc_u32_e32 v4, v4, v14
	v_mov_b32_dpp v14, v4 row_shr:4 row_mask:0xf bank_mask:0xf
	s_delay_alu instid0(VALU_DEP_1) | instskip(SKIP_1) | instid1(VALU_DEP_2)
	v_cndmask_b32_e32 v14, 0, v14, vcc_lo
	v_cmp_lt_u32_e32 vcc_lo, 7, v13
	v_add_nc_u32_e32 v4, v4, v14
	s_delay_alu instid0(VALU_DEP_1) | instskip(NEXT) | instid1(VALU_DEP_1)
	v_mov_b32_dpp v14, v4 row_shr:8 row_mask:0xf bank_mask:0xf
	v_cndmask_b32_e32 v13, 0, v14, vcc_lo
	v_bfe_i32 v14, v12, 4, 1
	s_delay_alu instid0(VALU_DEP_2) | instskip(SKIP_4) | instid1(VALU_DEP_2)
	v_add_nc_u32_e32 v4, v4, v13
	ds_swizzle_b32 v13, v4 offset:swizzle(BROADCAST,32,15)
	s_waitcnt lgkmcnt(0)
	v_and_b32_e32 v13, v14, v13
	v_lshrrev_b32_e32 v14, 5, v0
	v_add_nc_u32_e32 v13, v4, v13
	s_delay_alu instid0(VALU_DEP_2)
	v_lshlrev_b32_e32 v14, 2, v14
	v_cmpx_eq_u32_e64 v15, v0
	s_cbranch_execz .LBB48_4
; %bb.3:
	ds_store_b32 v14, v13 offset:4096
.LBB48_4:
	s_or_b32 exec_lo, exec_lo, s0
	v_lshlrev_b32_e32 v4, 2, v0
	s_mov_b32 s0, exec_lo
	s_waitcnt lgkmcnt(0)
	s_barrier
	buffer_gl0_inv
	v_cmpx_gt_u32_e32 4, v0
	s_cbranch_execz .LBB48_6
; %bb.5:
	ds_load_b32 v15, v4 offset:4096
	s_waitcnt lgkmcnt(0)
	v_mov_b32_dpp v17, v15 row_shr:1 row_mask:0xf bank_mask:0xf
	v_and_b32_e32 v16, 3, v12
	s_delay_alu instid0(VALU_DEP_1) | instskip(NEXT) | instid1(VALU_DEP_3)
	v_cmp_ne_u32_e32 vcc_lo, 0, v16
	v_cndmask_b32_e32 v17, 0, v17, vcc_lo
	v_cmp_lt_u32_e32 vcc_lo, 1, v16
	s_delay_alu instid0(VALU_DEP_2) | instskip(NEXT) | instid1(VALU_DEP_1)
	v_add_nc_u32_e32 v15, v17, v15
	v_mov_b32_dpp v17, v15 row_shr:2 row_mask:0xf bank_mask:0xf
	s_delay_alu instid0(VALU_DEP_1) | instskip(NEXT) | instid1(VALU_DEP_1)
	v_cndmask_b32_e32 v16, 0, v17, vcc_lo
	v_add_nc_u32_e32 v15, v15, v16
	ds_store_b32 v4, v15 offset:4096
.LBB48_6:
	s_or_b32 exec_lo, exec_lo, s0
	v_cmp_lt_u32_e32 vcc_lo, 31, v0
	v_dual_mov_b32 v0, 0 :: v_dual_mov_b32 v15, 0
	s_waitcnt lgkmcnt(0)
	s_barrier
	buffer_gl0_inv
	s_and_saveexec_b32 s0, vcc_lo
	s_cbranch_execz .LBB48_8
; %bb.7:
	ds_load_b32 v15, v14 offset:4092
.LBB48_8:
	s_or_b32 exec_lo, exec_lo, s0
	v_add_nc_u32_e32 v14, -1, v12
	ds_load_b32 v0, v0 offset:4108
	s_lshl_b64 s[0:1], s[2:3], 2
	s_waitcnt lgkmcnt(1)
	v_add_nc_u32_e32 v13, v15, v13
	s_add_u32 s0, s6, s0
	v_cmp_gt_i32_e32 vcc_lo, 0, v14
	s_addc_u32 s1, s7, s1
	v_cndmask_b32_e32 v14, v14, v12, vcc_lo
	v_cmp_eq_u32_e32 vcc_lo, 0, v12
	s_delay_alu instid0(VALU_DEP_2) | instskip(SKIP_3) | instid1(VALU_DEP_1)
	v_lshlrev_b32_e32 v14, 2, v14
	ds_bpermute_b32 v13, v14, v13
	s_waitcnt lgkmcnt(0)
	v_cndmask_b32_e32 v12, v13, v15, vcc_lo
	v_lshl_add_u32 v0, v0, 16, v12
	s_delay_alu instid0(VALU_DEP_1) | instskip(NEXT) | instid1(VALU_DEP_1)
	v_add_nc_u32_e32 v7, v0, v7
	v_add_nc_u32_e32 v8, v7, v8
	s_delay_alu instid0(VALU_DEP_1) | instskip(NEXT) | instid1(VALU_DEP_1)
	v_add_nc_u32_e32 v5, v8, v5
	v_add_nc_u32_e32 v6, v5, v6
	;; [unrolled: 3-line block ×3, first 2 shown]
	s_delay_alu instid0(VALU_DEP_1)
	v_add_nc_u32_e32 v3, v2, v3
	ds_store_2addr_b32 v11, v0, v7 offset1:1
	ds_store_2addr_b32 v11, v8, v5 offset0:2 offset1:3
	ds_store_2addr_b32 v11, v6, v1 offset0:4 offset1:5
	;; [unrolled: 1-line block ×3, first 2 shown]
	s_waitcnt lgkmcnt(0)
	s_barrier
	buffer_gl0_inv
	ds_load_u16 v0, v9
	v_and_b32_e32 v1, 0xffff, v10
	s_waitcnt lgkmcnt(0)
	s_delay_alu instid0(VALU_DEP_1)
	v_add_nc_u32_e32 v0, v0, v1
	global_store_b32 v4, v0, s[0:1]
	s_nop 0
	s_sendmsg sendmsg(MSG_DEALLOC_VGPRS)
	s_endpgm
	.section	.rodata,"a",@progbits
	.p2align	6, 0x0
	.amdhsa_kernel _Z11rank_kernelILj128ELj1ELj4ELb0EL18RadixRankAlgorithm1E6__halfEvPKT4_Pijj
		.amdhsa_group_segment_fixed_size 4112
		.amdhsa_private_segment_fixed_size 0
		.amdhsa_kernarg_size 24
		.amdhsa_user_sgpr_count 15
		.amdhsa_user_sgpr_dispatch_ptr 0
		.amdhsa_user_sgpr_queue_ptr 0
		.amdhsa_user_sgpr_kernarg_segment_ptr 1
		.amdhsa_user_sgpr_dispatch_id 0
		.amdhsa_user_sgpr_private_segment_size 0
		.amdhsa_wavefront_size32 1
		.amdhsa_uses_dynamic_stack 0
		.amdhsa_enable_private_segment 0
		.amdhsa_system_sgpr_workgroup_id_x 1
		.amdhsa_system_sgpr_workgroup_id_y 0
		.amdhsa_system_sgpr_workgroup_id_z 0
		.amdhsa_system_sgpr_workgroup_info 0
		.amdhsa_system_vgpr_workitem_id 0
		.amdhsa_next_free_vgpr 18
		.amdhsa_next_free_sgpr 16
		.amdhsa_reserve_vcc 1
		.amdhsa_float_round_mode_32 0
		.amdhsa_float_round_mode_16_64 0
		.amdhsa_float_denorm_mode_32 3
		.amdhsa_float_denorm_mode_16_64 3
		.amdhsa_dx10_clamp 1
		.amdhsa_ieee_mode 1
		.amdhsa_fp16_overflow 0
		.amdhsa_workgroup_processor_mode 1
		.amdhsa_memory_ordered 1
		.amdhsa_forward_progress 0
		.amdhsa_shared_vgpr_count 0
		.amdhsa_exception_fp_ieee_invalid_op 0
		.amdhsa_exception_fp_denorm_src 0
		.amdhsa_exception_fp_ieee_div_zero 0
		.amdhsa_exception_fp_ieee_overflow 0
		.amdhsa_exception_fp_ieee_underflow 0
		.amdhsa_exception_fp_ieee_inexact 0
		.amdhsa_exception_int_div_zero 0
	.end_amdhsa_kernel
	.section	.text._Z11rank_kernelILj128ELj1ELj4ELb0EL18RadixRankAlgorithm1E6__halfEvPKT4_Pijj,"axG",@progbits,_Z11rank_kernelILj128ELj1ELj4ELb0EL18RadixRankAlgorithm1E6__halfEvPKT4_Pijj,comdat
.Lfunc_end48:
	.size	_Z11rank_kernelILj128ELj1ELj4ELb0EL18RadixRankAlgorithm1E6__halfEvPKT4_Pijj, .Lfunc_end48-_Z11rank_kernelILj128ELj1ELj4ELb0EL18RadixRankAlgorithm1E6__halfEvPKT4_Pijj
                                        ; -- End function
	.section	.AMDGPU.csdata,"",@progbits
; Kernel info:
; codeLenInByte = 976
; NumSgprs: 18
; NumVgprs: 18
; ScratchSize: 0
; MemoryBound: 0
; FloatMode: 240
; IeeeMode: 1
; LDSByteSize: 4112 bytes/workgroup (compile time only)
; SGPRBlocks: 2
; VGPRBlocks: 2
; NumSGPRsForWavesPerEU: 18
; NumVGPRsForWavesPerEU: 18
; Occupancy: 16
; WaveLimiterHint : 0
; COMPUTE_PGM_RSRC2:SCRATCH_EN: 0
; COMPUTE_PGM_RSRC2:USER_SGPR: 15
; COMPUTE_PGM_RSRC2:TRAP_HANDLER: 0
; COMPUTE_PGM_RSRC2:TGID_X_EN: 1
; COMPUTE_PGM_RSRC2:TGID_Y_EN: 0
; COMPUTE_PGM_RSRC2:TGID_Z_EN: 0
; COMPUTE_PGM_RSRC2:TIDIG_COMP_CNT: 0
	.section	.text._Z11rank_kernelILj64ELj1ELj4ELb0EL18RadixRankAlgorithm1EjEvPKT4_Pijj,"axG",@progbits,_Z11rank_kernelILj64ELj1ELj4ELb0EL18RadixRankAlgorithm1EjEvPKT4_Pijj,comdat
	.protected	_Z11rank_kernelILj64ELj1ELj4ELb0EL18RadixRankAlgorithm1EjEvPKT4_Pijj ; -- Begin function _Z11rank_kernelILj64ELj1ELj4ELb0EL18RadixRankAlgorithm1EjEvPKT4_Pijj
	.globl	_Z11rank_kernelILj64ELj1ELj4ELb0EL18RadixRankAlgorithm1EjEvPKT4_Pijj
	.p2align	8
	.type	_Z11rank_kernelILj64ELj1ELj4ELb0EL18RadixRankAlgorithm1EjEvPKT4_Pijj,@function
_Z11rank_kernelILj64ELj1ELj4ELb0EL18RadixRankAlgorithm1EjEvPKT4_Pijj: ; @_Z11rank_kernelILj64ELj1ELj4ELb0EL18RadixRankAlgorithm1EjEvPKT4_Pijj
; %bb.0:
	s_load_b128 s[4:7], s[0:1], 0x0
	s_lshl_b32 s8, s15, 6
	s_mov_b32 s9, 0
	v_lshlrev_b32_e32 v9, 2, v0
	s_lshl_b64 s[2:3], s[8:9], 2
	s_waitcnt lgkmcnt(0)
	s_add_u32 s4, s4, s2
	s_addc_u32 s5, s5, s3
	global_load_b32 v1, v9, s[4:5]
	s_mov_b32 s4, exec_lo
	v_cmpx_gt_u32_e32 0x200, v0
	s_cbranch_execz .LBB49_3
; %bb.1:
	v_or_b32_e32 v2, 0xffffffc0, v0
	v_dual_mov_b32 v3, 0 :: v_dual_mov_b32 v4, v9
.LBB49_2:                               ; =>This Inner Loop Header: Depth=1
	s_delay_alu instid0(VALU_DEP_2) | instskip(SKIP_4) | instid1(SALU_CYCLE_1)
	v_add_nc_u32_e32 v2, 64, v2
	ds_store_b32 v4, v3
	v_add_nc_u32_e32 v4, 0x100, v4
	v_cmp_lt_u32_e32 vcc_lo, 0x1bf, v2
	s_or_b32 s9, vcc_lo, s9
	s_and_not1_b32 exec_lo, exec_lo, s9
	s_cbranch_execnz .LBB49_2
.LBB49_3:
	s_or_b32 exec_lo, exec_lo, s4
	s_load_b64 s[0:1], s[0:1], 0x10
	v_lshlrev_b32_e32 v12, 5, v0
	v_or_b32_e32 v16, 31, v0
	s_waitcnt lgkmcnt(0)
	s_and_b32 s1, s1, 31
	s_and_b32 s0, s0, 31
	s_delay_alu instid0(SALU_CYCLE_1) | instskip(NEXT) | instid1(SALU_CYCLE_1)
	s_add_i32 s0, s0, s1
	s_sub_i32 s0, 32, s0
	s_waitcnt vmcnt(0)
	v_lshlrev_b32_e32 v1, s0, v1
	s_sub_i32 s0, 32, s1
	s_cmp_lg_u32 s1, 0
	s_cselect_b32 vcc_lo, -1, 0
	s_delay_alu instid0(VALU_DEP_1) | instskip(SKIP_1) | instid1(VALU_DEP_1)
	v_lshrrev_b32_e32 v1, s0, v1
	s_mov_b32 s0, exec_lo
	v_cndmask_b32_e32 v1, 0, v1, vcc_lo
	s_delay_alu instid0(VALU_DEP_1) | instskip(NEXT) | instid1(VALU_DEP_1)
	v_lshlrev_b32_e32 v2, 6, v1
	v_and_or_b32 v2, 0x1c0, v2, v0
	s_delay_alu instid0(VALU_DEP_1) | instskip(SKIP_1) | instid1(VALU_DEP_1)
	v_lshlrev_b32_e32 v2, 1, v2
	v_lshrrev_b32_e32 v1, 3, v1
	v_add_lshl_u32 v10, v2, v1, 1
	ds_load_u16 v11, v10
	s_waitcnt lgkmcnt(0)
	v_add_nc_u16 v1, v11, 1
	ds_store_b16 v10, v1
	s_waitcnt lgkmcnt(0)
	s_barrier
	buffer_gl0_inv
	ds_load_2addr_b32 v[7:8], v12 offset1:1
	ds_load_2addr_b32 v[5:6], v12 offset0:2 offset1:3
	ds_load_2addr_b32 v[1:2], v12 offset0:4 offset1:5
	;; [unrolled: 1-line block ×3, first 2 shown]
	s_waitcnt lgkmcnt(3)
	v_add_nc_u32_e32 v13, v8, v7
	s_waitcnt lgkmcnt(2)
	s_delay_alu instid0(VALU_DEP_1) | instskip(SKIP_1) | instid1(VALU_DEP_1)
	v_add3_u32 v13, v13, v5, v6
	s_waitcnt lgkmcnt(1)
	v_add3_u32 v14, v13, v1, v2
	v_mbcnt_lo_u32_b32 v13, -1, 0
	s_waitcnt lgkmcnt(0)
	s_delay_alu instid0(VALU_DEP_2) | instskip(NEXT) | instid1(VALU_DEP_2)
	v_add3_u32 v4, v14, v3, v4
	v_and_b32_e32 v14, 15, v13
	s_delay_alu instid0(VALU_DEP_2) | instskip(NEXT) | instid1(VALU_DEP_2)
	v_mov_b32_dpp v15, v4 row_shr:1 row_mask:0xf bank_mask:0xf
	v_cmp_ne_u32_e32 vcc_lo, 0, v14
	s_delay_alu instid0(VALU_DEP_2) | instskip(SKIP_1) | instid1(VALU_DEP_2)
	v_cndmask_b32_e32 v15, 0, v15, vcc_lo
	v_cmp_lt_u32_e32 vcc_lo, 1, v14
	v_add_nc_u32_e32 v4, v15, v4
	s_delay_alu instid0(VALU_DEP_1) | instskip(NEXT) | instid1(VALU_DEP_1)
	v_mov_b32_dpp v15, v4 row_shr:2 row_mask:0xf bank_mask:0xf
	v_cndmask_b32_e32 v15, 0, v15, vcc_lo
	v_cmp_lt_u32_e32 vcc_lo, 3, v14
	s_delay_alu instid0(VALU_DEP_2) | instskip(NEXT) | instid1(VALU_DEP_1)
	v_add_nc_u32_e32 v4, v4, v15
	v_mov_b32_dpp v15, v4 row_shr:4 row_mask:0xf bank_mask:0xf
	s_delay_alu instid0(VALU_DEP_1) | instskip(SKIP_1) | instid1(VALU_DEP_2)
	v_cndmask_b32_e32 v15, 0, v15, vcc_lo
	v_cmp_lt_u32_e32 vcc_lo, 7, v14
	v_add_nc_u32_e32 v4, v4, v15
	s_delay_alu instid0(VALU_DEP_1) | instskip(NEXT) | instid1(VALU_DEP_1)
	v_mov_b32_dpp v15, v4 row_shr:8 row_mask:0xf bank_mask:0xf
	v_cndmask_b32_e32 v14, 0, v15, vcc_lo
	v_bfe_i32 v15, v13, 4, 1
	s_delay_alu instid0(VALU_DEP_2) | instskip(SKIP_4) | instid1(VALU_DEP_2)
	v_add_nc_u32_e32 v4, v4, v14
	ds_swizzle_b32 v14, v4 offset:swizzle(BROADCAST,32,15)
	s_waitcnt lgkmcnt(0)
	v_and_b32_e32 v14, v15, v14
	v_lshrrev_b32_e32 v15, 5, v0
	v_add_nc_u32_e32 v4, v4, v14
	s_delay_alu instid0(VALU_DEP_2)
	v_lshlrev_b32_e32 v14, 2, v15
	v_cmpx_eq_u32_e64 v16, v0
	s_cbranch_execz .LBB49_5
; %bb.4:
	ds_store_b32 v14, v4 offset:2048
.LBB49_5:
	s_or_b32 exec_lo, exec_lo, s0
	s_delay_alu instid0(SALU_CYCLE_1)
	s_mov_b32 s0, exec_lo
	s_waitcnt lgkmcnt(0)
	s_barrier
	buffer_gl0_inv
	v_cmpx_gt_u32_e32 2, v0
	s_cbranch_execz .LBB49_7
; %bb.6:
	ds_load_b32 v15, v9 offset:2048
	v_bfe_i32 v16, v13, 0, 1
	s_waitcnt lgkmcnt(0)
	v_mov_b32_dpp v17, v15 row_shr:1 row_mask:0xf bank_mask:0xf
	s_delay_alu instid0(VALU_DEP_1) | instskip(NEXT) | instid1(VALU_DEP_1)
	v_and_b32_e32 v16, v16, v17
	v_add_nc_u32_e32 v15, v16, v15
	ds_store_b32 v9, v15 offset:2048
.LBB49_7:
	s_or_b32 exec_lo, exec_lo, s0
	v_cmp_lt_u32_e32 vcc_lo, 31, v0
	v_dual_mov_b32 v0, 0 :: v_dual_mov_b32 v15, 0
	s_waitcnt lgkmcnt(0)
	s_barrier
	buffer_gl0_inv
	s_and_saveexec_b32 s0, vcc_lo
	s_cbranch_execz .LBB49_9
; %bb.8:
	ds_load_b32 v15, v14 offset:2044
.LBB49_9:
	s_or_b32 exec_lo, exec_lo, s0
	v_add_nc_u32_e32 v14, -1, v13
	s_waitcnt lgkmcnt(0)
	v_add_nc_u32_e32 v4, v15, v4
	ds_load_b32 v0, v0 offset:2052
	s_add_u32 s0, s6, s2
	s_addc_u32 s1, s7, s3
	v_cmp_gt_i32_e32 vcc_lo, 0, v14
	v_cndmask_b32_e32 v14, v14, v13, vcc_lo
	v_cmp_eq_u32_e32 vcc_lo, 0, v13
	s_delay_alu instid0(VALU_DEP_2) | instskip(SKIP_3) | instid1(VALU_DEP_1)
	v_lshlrev_b32_e32 v14, 2, v14
	ds_bpermute_b32 v4, v14, v4
	s_waitcnt lgkmcnt(0)
	v_cndmask_b32_e32 v4, v4, v15, vcc_lo
	v_lshl_add_u32 v0, v0, 16, v4
	s_delay_alu instid0(VALU_DEP_1) | instskip(NEXT) | instid1(VALU_DEP_1)
	v_add_nc_u32_e32 v4, v0, v7
	v_add_nc_u32_e32 v7, v4, v8
	s_delay_alu instid0(VALU_DEP_1) | instskip(NEXT) | instid1(VALU_DEP_1)
	v_add_nc_u32_e32 v5, v7, v5
	v_add_nc_u32_e32 v6, v5, v6
	;; [unrolled: 3-line block ×3, first 2 shown]
	s_delay_alu instid0(VALU_DEP_1)
	v_add_nc_u32_e32 v3, v2, v3
	ds_store_2addr_b32 v12, v0, v4 offset1:1
	ds_store_2addr_b32 v12, v7, v5 offset0:2 offset1:3
	ds_store_2addr_b32 v12, v6, v1 offset0:4 offset1:5
	;; [unrolled: 1-line block ×3, first 2 shown]
	s_waitcnt lgkmcnt(0)
	s_barrier
	buffer_gl0_inv
	ds_load_u16 v0, v10
	v_and_b32_e32 v1, 0xffff, v11
	s_waitcnt lgkmcnt(0)
	s_delay_alu instid0(VALU_DEP_1)
	v_add_nc_u32_e32 v0, v0, v1
	global_store_b32 v9, v0, s[0:1]
	s_nop 0
	s_sendmsg sendmsg(MSG_DEALLOC_VGPRS)
	s_endpgm
	.section	.rodata,"a",@progbits
	.p2align	6, 0x0
	.amdhsa_kernel _Z11rank_kernelILj64ELj1ELj4ELb0EL18RadixRankAlgorithm1EjEvPKT4_Pijj
		.amdhsa_group_segment_fixed_size 2064
		.amdhsa_private_segment_fixed_size 0
		.amdhsa_kernarg_size 24
		.amdhsa_user_sgpr_count 15
		.amdhsa_user_sgpr_dispatch_ptr 0
		.amdhsa_user_sgpr_queue_ptr 0
		.amdhsa_user_sgpr_kernarg_segment_ptr 1
		.amdhsa_user_sgpr_dispatch_id 0
		.amdhsa_user_sgpr_private_segment_size 0
		.amdhsa_wavefront_size32 1
		.amdhsa_uses_dynamic_stack 0
		.amdhsa_enable_private_segment 0
		.amdhsa_system_sgpr_workgroup_id_x 1
		.amdhsa_system_sgpr_workgroup_id_y 0
		.amdhsa_system_sgpr_workgroup_id_z 0
		.amdhsa_system_sgpr_workgroup_info 0
		.amdhsa_system_vgpr_workitem_id 0
		.amdhsa_next_free_vgpr 18
		.amdhsa_next_free_sgpr 16
		.amdhsa_reserve_vcc 1
		.amdhsa_float_round_mode_32 0
		.amdhsa_float_round_mode_16_64 0
		.amdhsa_float_denorm_mode_32 3
		.amdhsa_float_denorm_mode_16_64 3
		.amdhsa_dx10_clamp 1
		.amdhsa_ieee_mode 1
		.amdhsa_fp16_overflow 0
		.amdhsa_workgroup_processor_mode 1
		.amdhsa_memory_ordered 1
		.amdhsa_forward_progress 0
		.amdhsa_shared_vgpr_count 0
		.amdhsa_exception_fp_ieee_invalid_op 0
		.amdhsa_exception_fp_denorm_src 0
		.amdhsa_exception_fp_ieee_div_zero 0
		.amdhsa_exception_fp_ieee_overflow 0
		.amdhsa_exception_fp_ieee_underflow 0
		.amdhsa_exception_fp_ieee_inexact 0
		.amdhsa_exception_int_div_zero 0
	.end_amdhsa_kernel
	.section	.text._Z11rank_kernelILj64ELj1ELj4ELb0EL18RadixRankAlgorithm1EjEvPKT4_Pijj,"axG",@progbits,_Z11rank_kernelILj64ELj1ELj4ELb0EL18RadixRankAlgorithm1EjEvPKT4_Pijj,comdat
.Lfunc_end49:
	.size	_Z11rank_kernelILj64ELj1ELj4ELb0EL18RadixRankAlgorithm1EjEvPKT4_Pijj, .Lfunc_end49-_Z11rank_kernelILj64ELj1ELj4ELb0EL18RadixRankAlgorithm1EjEvPKT4_Pijj
                                        ; -- End function
	.section	.AMDGPU.csdata,"",@progbits
; Kernel info:
; codeLenInByte = 896
; NumSgprs: 18
; NumVgprs: 18
; ScratchSize: 0
; MemoryBound: 0
; FloatMode: 240
; IeeeMode: 1
; LDSByteSize: 2064 bytes/workgroup (compile time only)
; SGPRBlocks: 2
; VGPRBlocks: 2
; NumSGPRsForWavesPerEU: 18
; NumVGPRsForWavesPerEU: 18
; Occupancy: 16
; WaveLimiterHint : 0
; COMPUTE_PGM_RSRC2:SCRATCH_EN: 0
; COMPUTE_PGM_RSRC2:USER_SGPR: 15
; COMPUTE_PGM_RSRC2:TRAP_HANDLER: 0
; COMPUTE_PGM_RSRC2:TGID_X_EN: 1
; COMPUTE_PGM_RSRC2:TGID_Y_EN: 0
; COMPUTE_PGM_RSRC2:TGID_Z_EN: 0
; COMPUTE_PGM_RSRC2:TIDIG_COMP_CNT: 0
	.section	.text._Z11rank_kernelILj193ELj2ELj4ELb1EL18RadixRankAlgorithm2E12hip_bfloat16EvPKT4_Pijj,"axG",@progbits,_Z11rank_kernelILj193ELj2ELj4ELb1EL18RadixRankAlgorithm2E12hip_bfloat16EvPKT4_Pijj,comdat
	.protected	_Z11rank_kernelILj193ELj2ELj4ELb1EL18RadixRankAlgorithm2E12hip_bfloat16EvPKT4_Pijj ; -- Begin function _Z11rank_kernelILj193ELj2ELj4ELb1EL18RadixRankAlgorithm2E12hip_bfloat16EvPKT4_Pijj
	.globl	_Z11rank_kernelILj193ELj2ELj4ELb1EL18RadixRankAlgorithm2E12hip_bfloat16EvPKT4_Pijj
	.p2align	8
	.type	_Z11rank_kernelILj193ELj2ELj4ELb1EL18RadixRankAlgorithm2E12hip_bfloat16EvPKT4_Pijj,@function
_Z11rank_kernelILj193ELj2ELj4ELb1EL18RadixRankAlgorithm2E12hip_bfloat16EvPKT4_Pijj: ; @_Z11rank_kernelILj193ELj2ELj4ELb1EL18RadixRankAlgorithm2E12hip_bfloat16EvPKT4_Pijj
; %bb.0:
	s_clause 0x1
	s_load_b128 s[4:7], s[0:1], 0x0
	s_load_b64 s[10:11], s[0:1], 0x10
	v_and_b32_e32 v1, 0x3ff, v0
	s_mov_b32 s3, 0
	s_mul_i32 s2, s15, 0x182
	v_mbcnt_lo_u32_b32 v6, -1, 0
	s_lshl_b64 s[8:9], s[2:3], 1
	v_lshlrev_b32_e32 v5, 2, v1
	v_and_b32_e32 v11, 0xe0, v1
	v_lshlrev_b32_e32 v2, 1, v1
	s_load_b32 s0, s[0:1], 0x24
	v_bfe_u32 v17, v0, 10, 10
	v_bfe_u32 v0, v0, 20, 10
	v_or_b32_e32 v4, v6, v11
	v_and_b32_e32 v8, 0x1c0, v2
	v_cmp_eq_u32_e32 vcc_lo, 0xc0, v11
	s_delay_alu instid0(VALU_DEP_3)
	v_bfe_u32 v3, v4, 4, 27
	v_lshlrev_b32_e32 v4, 1, v4
	s_waitcnt lgkmcnt(0)
	s_add_u32 s4, s4, s8
	s_addc_u32 s5, s5, s9
	v_or_b32_e32 v7, v6, v8
	global_load_b32 v10, v5, s[4:5]
	v_and_b32_e32 v9, 14, v3
	v_lshrrev_b32_e32 v8, 5, v8
	v_cndmask_b32_e64 v12, 32, 1, vcc_lo
	s_delay_alu instid0(VALU_DEP_3) | instskip(NEXT) | instid1(VALU_DEP_3)
	v_add_lshl_u32 v13, v9, v4, 1
	v_add_lshl_u32 v14, v8, v7, 1
	s_delay_alu instid0(VALU_DEP_3)
	v_add_nc_u32_e32 v9, v7, v12
	s_lshr_b32 s8, s0, 16
	s_and_b32 s9, s0, 0xffff
	s_and_b32 s0, s11, 31
	v_mad_u32_u24 v0, v0, s8, v17
	s_cmp_eq_u32 s0, 0
	s_cselect_b32 s1, -1, 0
	s_and_b32 s4, s10, 31
	s_sub_i32 s5, 32, s0
	s_add_i32 s4, s4, s0
	s_delay_alu instid0(SALU_CYCLE_1) | instskip(SKIP_4) | instid1(VALU_DEP_1)
	s_sub_i32 s4, 32, s4
	s_waitcnt vmcnt(0)
	ds_store_b32 v13, v10
	; wave barrier
	ds_load_u16 v12, v14
	v_lshrrev_b32_e32 v10, 5, v9
	v_and_b32_e32 v13, 30, v10
	s_delay_alu instid0(VALU_DEP_1)
	v_add_lshl_u32 v13, v13, v9, 1
	ds_load_u16 v13, v13
	s_waitcnt lgkmcnt(0)
	s_barrier
	buffer_gl0_inv
	v_cmp_lt_i16_e32 vcc_lo, -1, v12
	v_cndmask_b32_e64 v14, -1, 0xffff8000, vcc_lo
	s_delay_alu instid0(VALU_DEP_1) | instskip(NEXT) | instid1(VALU_DEP_1)
	v_xor_b32_e32 v12, v14, v12
	v_cmp_ne_u16_e32 vcc_lo, 0x7fff, v12
	v_cndmask_b32_e32 v12, 0xffff8000, v12, vcc_lo
	s_delay_alu instid0(VALU_DEP_1) | instskip(NEXT) | instid1(VALU_DEP_1)
	v_and_b32_e32 v12, 0xffff, v12
	v_lshlrev_b32_e32 v12, s4, v12
	s_delay_alu instid0(VALU_DEP_1) | instskip(NEXT) | instid1(VALU_DEP_1)
	v_bfe_u32 v12, v12, s5, 16
	v_xor_b32_e32 v12, 15, v12
	s_delay_alu instid0(VALU_DEP_1) | instskip(NEXT) | instid1(VALU_DEP_1)
	v_cndmask_b32_e64 v12, v12, 15, s1
	v_and_b32_e32 v14, 1, v12
	v_lshlrev_b32_e32 v15, 30, v12
	v_lshlrev_b32_e32 v18, 29, v12
	s_delay_alu instid0(VALU_DEP_3) | instskip(NEXT) | instid1(VALU_DEP_1)
	v_add_co_u32 v14, s0, v14, -1
	v_cndmask_b32_e64 v16, 0, 1, s0
	s_delay_alu instid0(VALU_DEP_4) | instskip(SKIP_2) | instid1(VALU_DEP_4)
	v_not_b32_e32 v19, v15
	v_cmp_gt_i32_e64 s0, 0, v15
	v_not_b32_e32 v15, v18
	v_cmp_ne_u32_e32 vcc_lo, 0, v16
	v_lshlrev_b32_e32 v16, 28, v12
	v_ashrrev_i32_e32 v19, 31, v19
	s_delay_alu instid0(VALU_DEP_4)
	v_ashrrev_i32_e32 v15, 31, v15
	v_mul_u32_u24_e32 v12, 7, v12
	v_xor_b32_e32 v14, vcc_lo, v14
	v_cmp_gt_i32_e32 vcc_lo, 0, v18
	v_not_b32_e32 v18, v16
	v_xor_b32_e32 v19, s0, v19
	v_cmp_gt_i32_e64 s0, 0, v16
	v_and_b32_e32 v14, exec_lo, v14
	v_xor_b32_e32 v17, vcc_lo, v15
	v_ashrrev_i32_e32 v16, 31, v18
	s_delay_alu instid0(VALU_DEP_3) | instskip(SKIP_1) | instid1(VALU_DEP_3)
	v_and_b32_e32 v18, v14, v19
	v_mad_u64_u32 v[14:15], null, v0, s9, v[1:2]
	v_xor_b32_e32 v0, s0, v16
	s_delay_alu instid0(VALU_DEP_3) | instskip(NEXT) | instid1(VALU_DEP_3)
	v_dual_mov_b32 v16, 0 :: v_dual_and_b32 v15, v18, v17
	v_lshrrev_b32_e32 v14, 5, v14
	s_delay_alu instid0(VALU_DEP_2)
	v_and_b32_e32 v15, v15, v0
	ds_store_b32 v5, v16 offset:28
	s_waitcnt lgkmcnt(0)
	s_barrier
	v_add_lshl_u32 v12, v12, v14, 2
	v_mbcnt_lo_u32_b32 v0, v15, 0
	v_cmp_ne_u32_e64 s0, 0, v15
	buffer_gl0_inv
	; wave barrier
	v_cmp_eq_u32_e32 vcc_lo, 0, v0
	s_and_b32 s8, vcc_lo, s0
	s_delay_alu instid0(SALU_CYCLE_1)
	s_and_saveexec_b32 s0, s8
	s_cbranch_execz .LBB50_2
; %bb.1:
	v_bcnt_u32_b32 v15, v15, 0
	ds_store_b32 v12, v15 offset:28
.LBB50_2:
	s_or_b32 exec_lo, exec_lo, s0
	v_cmp_lt_i16_e32 vcc_lo, -1, v13
	; wave barrier
	v_cndmask_b32_e64 v15, -1, 0xffff8000, vcc_lo
	s_delay_alu instid0(VALU_DEP_1) | instskip(NEXT) | instid1(VALU_DEP_1)
	v_xor_b32_e32 v13, v15, v13
	v_cmp_ne_u16_e32 vcc_lo, 0x7fff, v13
	v_cndmask_b32_e32 v13, 0xffff8000, v13, vcc_lo
	s_delay_alu instid0(VALU_DEP_1) | instskip(NEXT) | instid1(VALU_DEP_1)
	v_and_b32_e32 v13, 0xffff, v13
	v_lshlrev_b32_e32 v13, s4, v13
	s_delay_alu instid0(VALU_DEP_1) | instskip(NEXT) | instid1(VALU_DEP_1)
	v_bfe_u32 v13, v13, s5, 16
	v_xor_b32_e32 v13, 15, v13
	s_delay_alu instid0(VALU_DEP_1) | instskip(NEXT) | instid1(VALU_DEP_1)
	v_cndmask_b32_e64 v13, v13, 15, s1
	v_and_b32_e32 v15, 1, v13
	v_lshlrev_b32_e32 v16, 30, v13
	v_lshlrev_b32_e32 v18, 29, v13
	s_delay_alu instid0(VALU_DEP_3) | instskip(NEXT) | instid1(VALU_DEP_1)
	v_add_co_u32 v15, s0, v15, -1
	v_cndmask_b32_e64 v17, 0, 1, s0
	s_delay_alu instid0(VALU_DEP_4) | instskip(SKIP_2) | instid1(VALU_DEP_4)
	v_not_b32_e32 v19, v16
	v_cmp_gt_i32_e64 s0, 0, v16
	v_not_b32_e32 v16, v18
	v_cmp_ne_u32_e32 vcc_lo, 0, v17
	v_lshlrev_b32_e32 v17, 28, v13
	v_ashrrev_i32_e32 v19, 31, v19
	s_delay_alu instid0(VALU_DEP_4)
	v_ashrrev_i32_e32 v16, 31, v16
	v_mul_u32_u24_e32 v13, 7, v13
	v_xor_b32_e32 v15, vcc_lo, v15
	v_cmp_gt_i32_e32 vcc_lo, 0, v18
	v_not_b32_e32 v18, v17
	v_xor_b32_e32 v19, s0, v19
	v_cmp_gt_i32_e64 s0, 0, v17
	v_and_b32_e32 v15, exec_lo, v15
	v_xor_b32_e32 v16, vcc_lo, v16
	v_ashrrev_i32_e32 v17, 31, v18
	s_delay_alu instid0(VALU_DEP_3) | instskip(SKIP_1) | instid1(VALU_DEP_3)
	v_and_b32_e32 v18, v15, v19
	v_add_lshl_u32 v15, v13, v14, 2
	v_xor_b32_e32 v14, s0, v17
	s_delay_alu instid0(VALU_DEP_3) | instskip(SKIP_2) | instid1(VALU_DEP_1)
	v_and_b32_e32 v16, v18, v16
	ds_load_b32 v13, v15 offset:28
	; wave barrier
	v_and_b32_e32 v16, v16, v14
	v_mbcnt_lo_u32_b32 v14, v16, 0
	v_cmp_ne_u32_e64 s0, 0, v16
	s_delay_alu instid0(VALU_DEP_2) | instskip(NEXT) | instid1(VALU_DEP_2)
	v_cmp_eq_u32_e32 vcc_lo, 0, v14
	s_and_b32 s1, vcc_lo, s0
	s_delay_alu instid0(SALU_CYCLE_1)
	s_and_saveexec_b32 s0, s1
	s_cbranch_execz .LBB50_4
; %bb.3:
	s_waitcnt lgkmcnt(0)
	v_bcnt_u32_b32 v16, v16, v13
	ds_store_b32 v15, v16 offset:28
.LBB50_4:
	s_or_b32 exec_lo, exec_lo, s0
	; wave barrier
	s_waitcnt lgkmcnt(0)
	s_barrier
	buffer_gl0_inv
	ds_load_b32 v16, v5 offset:28
	v_and_b32_e32 v17, 15, v6
	v_min_u32_e32 v11, 0xa1, v11
	s_mov_b32 s0, exec_lo
	s_delay_alu instid0(VALU_DEP_2) | instskip(NEXT) | instid1(VALU_DEP_2)
	v_cmp_ne_u32_e32 vcc_lo, 0, v17
	v_add_nc_u32_e32 v19, 31, v11
	s_waitcnt lgkmcnt(0)
	v_mov_b32_dpp v18, v16 row_shr:1 row_mask:0xf bank_mask:0xf
	s_delay_alu instid0(VALU_DEP_1) | instskip(SKIP_1) | instid1(VALU_DEP_2)
	v_cndmask_b32_e32 v18, 0, v18, vcc_lo
	v_cmp_lt_u32_e32 vcc_lo, 1, v17
	v_add_nc_u32_e32 v16, v18, v16
	s_delay_alu instid0(VALU_DEP_1) | instskip(NEXT) | instid1(VALU_DEP_1)
	v_mov_b32_dpp v18, v16 row_shr:2 row_mask:0xf bank_mask:0xf
	v_cndmask_b32_e32 v18, 0, v18, vcc_lo
	v_cmp_lt_u32_e32 vcc_lo, 3, v17
	s_delay_alu instid0(VALU_DEP_2) | instskip(NEXT) | instid1(VALU_DEP_1)
	v_add_nc_u32_e32 v16, v16, v18
	v_mov_b32_dpp v18, v16 row_shr:4 row_mask:0xf bank_mask:0xf
	s_delay_alu instid0(VALU_DEP_1) | instskip(SKIP_1) | instid1(VALU_DEP_2)
	v_cndmask_b32_e32 v18, 0, v18, vcc_lo
	v_cmp_lt_u32_e32 vcc_lo, 7, v17
	v_add_nc_u32_e32 v16, v16, v18
	s_delay_alu instid0(VALU_DEP_1) | instskip(NEXT) | instid1(VALU_DEP_1)
	v_mov_b32_dpp v18, v16 row_shr:8 row_mask:0xf bank_mask:0xf
	v_cndmask_b32_e32 v17, 0, v18, vcc_lo
	v_bfe_i32 v18, v6, 4, 1
	s_delay_alu instid0(VALU_DEP_2) | instskip(SKIP_4) | instid1(VALU_DEP_2)
	v_add_nc_u32_e32 v17, v16, v17
	ds_swizzle_b32 v16, v17 offset:swizzle(BROADCAST,32,15)
	s_waitcnt lgkmcnt(0)
	v_and_b32_e32 v18, v18, v16
	v_lshrrev_b32_e32 v16, 5, v1
	v_add_nc_u32_e32 v11, v17, v18
	v_cmpx_eq_u32_e64 v19, v1
	s_xor_b32 s0, exec_lo, s0
	s_cbranch_execz .LBB50_6
; %bb.5:
	v_lshlrev_b32_e32 v17, 2, v16
	ds_store_b32 v17, v11
.LBB50_6:
	s_or_b32 exec_lo, exec_lo, s0
	s_delay_alu instid0(SALU_CYCLE_1)
	s_mov_b32 s0, exec_lo
	s_waitcnt lgkmcnt(0)
	s_barrier
	buffer_gl0_inv
	v_cmpx_gt_u32_e32 7, v1
	s_cbranch_execz .LBB50_8
; %bb.7:
	ds_load_b32 v17, v5
	s_waitcnt lgkmcnt(0)
	v_mov_b32_dpp v19, v17 row_shr:1 row_mask:0xf bank_mask:0xf
	v_and_b32_e32 v18, 7, v6
	s_delay_alu instid0(VALU_DEP_1) | instskip(NEXT) | instid1(VALU_DEP_3)
	v_cmp_ne_u32_e32 vcc_lo, 0, v18
	v_cndmask_b32_e32 v19, 0, v19, vcc_lo
	v_cmp_lt_u32_e32 vcc_lo, 1, v18
	s_delay_alu instid0(VALU_DEP_2) | instskip(NEXT) | instid1(VALU_DEP_1)
	v_add_nc_u32_e32 v17, v19, v17
	v_mov_b32_dpp v19, v17 row_shr:2 row_mask:0xf bank_mask:0xf
	s_delay_alu instid0(VALU_DEP_1) | instskip(SKIP_1) | instid1(VALU_DEP_2)
	v_cndmask_b32_e32 v19, 0, v19, vcc_lo
	v_cmp_lt_u32_e32 vcc_lo, 3, v18
	v_add_nc_u32_e32 v17, v17, v19
	s_delay_alu instid0(VALU_DEP_1) | instskip(NEXT) | instid1(VALU_DEP_1)
	v_mov_b32_dpp v19, v17 row_shr:4 row_mask:0xf bank_mask:0xf
	v_cndmask_b32_e32 v18, 0, v19, vcc_lo
	s_delay_alu instid0(VALU_DEP_1)
	v_add_nc_u32_e32 v17, v17, v18
	ds_store_b32 v5, v17
.LBB50_8:
	s_or_b32 exec_lo, exec_lo, s0
	v_cmp_lt_u32_e32 vcc_lo, 31, v1
	v_mov_b32_e32 v1, 0
	s_waitcnt lgkmcnt(0)
	s_barrier
	buffer_gl0_inv
	s_and_saveexec_b32 s0, vcc_lo
	s_cbranch_execz .LBB50_10
; %bb.9:
	v_lshl_add_u32 v1, v16, 2, -4
	ds_load_b32 v1, v1
.LBB50_10:
	s_or_b32 exec_lo, exec_lo, s0
	v_add_nc_u32_e32 v16, -1, v6
	v_add_lshl_u32 v3, v3, v4, 2
	s_lshl_b64 s[0:1], s[2:3], 2
	v_lshlrev_b32_e32 v2, 2, v2
	s_add_u32 s0, s6, s0
	v_cmp_gt_i32_e32 vcc_lo, 0, v16
	s_addc_u32 s1, s7, s1
	s_waitcnt lgkmcnt(0)
	v_dual_cndmask_b32 v16, v16, v6 :: v_dual_add_nc_u32 v11, v1, v11
	v_cmp_eq_u32_e32 vcc_lo, 0, v6
	v_add_lshl_u32 v6, v8, v7, 2
	v_add_lshl_u32 v7, v10, v9, 2
	s_delay_alu instid0(VALU_DEP_4)
	v_lshlrev_b32_e32 v16, 2, v16
	ds_bpermute_b32 v11, v16, v11
	s_waitcnt lgkmcnt(0)
	v_cndmask_b32_e32 v1, v11, v1, vcc_lo
	ds_store_b32 v5, v1 offset:28
	s_waitcnt lgkmcnt(0)
	s_barrier
	buffer_gl0_inv
	ds_load_b32 v1, v12 offset:28
	ds_load_b32 v5, v15 offset:28
	s_waitcnt lgkmcnt(0)
	s_barrier
	buffer_gl0_inv
	v_add_nc_u32_e32 v0, v1, v0
	v_add3_u32 v1, v14, v13, v5
	ds_store_b32 v6, v0
	ds_store_b32 v7, v1
	; wave barrier
	ds_load_2addr_b32 v[0:1], v3 offset1:1
	s_waitcnt lgkmcnt(0)
	global_store_b64 v2, v[0:1], s[0:1]
	s_nop 0
	s_sendmsg sendmsg(MSG_DEALLOC_VGPRS)
	s_endpgm
	.section	.rodata,"a",@progbits
	.p2align	6, 0x0
	.amdhsa_kernel _Z11rank_kernelILj193ELj2ELj4ELb1EL18RadixRankAlgorithm2E12hip_bfloat16EvPKT4_Pijj
		.amdhsa_group_segment_fixed_size 1600
		.amdhsa_private_segment_fixed_size 0
		.amdhsa_kernarg_size 280
		.amdhsa_user_sgpr_count 15
		.amdhsa_user_sgpr_dispatch_ptr 0
		.amdhsa_user_sgpr_queue_ptr 0
		.amdhsa_user_sgpr_kernarg_segment_ptr 1
		.amdhsa_user_sgpr_dispatch_id 0
		.amdhsa_user_sgpr_private_segment_size 0
		.amdhsa_wavefront_size32 1
		.amdhsa_uses_dynamic_stack 0
		.amdhsa_enable_private_segment 0
		.amdhsa_system_sgpr_workgroup_id_x 1
		.amdhsa_system_sgpr_workgroup_id_y 0
		.amdhsa_system_sgpr_workgroup_id_z 0
		.amdhsa_system_sgpr_workgroup_info 0
		.amdhsa_system_vgpr_workitem_id 2
		.amdhsa_next_free_vgpr 20
		.amdhsa_next_free_sgpr 16
		.amdhsa_reserve_vcc 1
		.amdhsa_float_round_mode_32 0
		.amdhsa_float_round_mode_16_64 0
		.amdhsa_float_denorm_mode_32 3
		.amdhsa_float_denorm_mode_16_64 3
		.amdhsa_dx10_clamp 1
		.amdhsa_ieee_mode 1
		.amdhsa_fp16_overflow 0
		.amdhsa_workgroup_processor_mode 1
		.amdhsa_memory_ordered 1
		.amdhsa_forward_progress 0
		.amdhsa_shared_vgpr_count 0
		.amdhsa_exception_fp_ieee_invalid_op 0
		.amdhsa_exception_fp_denorm_src 0
		.amdhsa_exception_fp_ieee_div_zero 0
		.amdhsa_exception_fp_ieee_overflow 0
		.amdhsa_exception_fp_ieee_underflow 0
		.amdhsa_exception_fp_ieee_inexact 0
		.amdhsa_exception_int_div_zero 0
	.end_amdhsa_kernel
	.section	.text._Z11rank_kernelILj193ELj2ELj4ELb1EL18RadixRankAlgorithm2E12hip_bfloat16EvPKT4_Pijj,"axG",@progbits,_Z11rank_kernelILj193ELj2ELj4ELb1EL18RadixRankAlgorithm2E12hip_bfloat16EvPKT4_Pijj,comdat
.Lfunc_end50:
	.size	_Z11rank_kernelILj193ELj2ELj4ELb1EL18RadixRankAlgorithm2E12hip_bfloat16EvPKT4_Pijj, .Lfunc_end50-_Z11rank_kernelILj193ELj2ELj4ELb1EL18RadixRankAlgorithm2E12hip_bfloat16EvPKT4_Pijj
                                        ; -- End function
	.section	.AMDGPU.csdata,"",@progbits
; Kernel info:
; codeLenInByte = 1556
; NumSgprs: 18
; NumVgprs: 20
; ScratchSize: 0
; MemoryBound: 0
; FloatMode: 240
; IeeeMode: 1
; LDSByteSize: 1600 bytes/workgroup (compile time only)
; SGPRBlocks: 2
; VGPRBlocks: 2
; NumSGPRsForWavesPerEU: 18
; NumVGPRsForWavesPerEU: 20
; Occupancy: 16
; WaveLimiterHint : 0
; COMPUTE_PGM_RSRC2:SCRATCH_EN: 0
; COMPUTE_PGM_RSRC2:USER_SGPR: 15
; COMPUTE_PGM_RSRC2:TRAP_HANDLER: 0
; COMPUTE_PGM_RSRC2:TGID_X_EN: 1
; COMPUTE_PGM_RSRC2:TGID_Y_EN: 0
; COMPUTE_PGM_RSRC2:TGID_Z_EN: 0
; COMPUTE_PGM_RSRC2:TIDIG_COMP_CNT: 2
	.section	.text._Z11rank_kernelILj193ELj2ELj4ELb1EL18RadixRankAlgorithm2E6__halfEvPKT4_Pijj,"axG",@progbits,_Z11rank_kernelILj193ELj2ELj4ELb1EL18RadixRankAlgorithm2E6__halfEvPKT4_Pijj,comdat
	.protected	_Z11rank_kernelILj193ELj2ELj4ELb1EL18RadixRankAlgorithm2E6__halfEvPKT4_Pijj ; -- Begin function _Z11rank_kernelILj193ELj2ELj4ELb1EL18RadixRankAlgorithm2E6__halfEvPKT4_Pijj
	.globl	_Z11rank_kernelILj193ELj2ELj4ELb1EL18RadixRankAlgorithm2E6__halfEvPKT4_Pijj
	.p2align	8
	.type	_Z11rank_kernelILj193ELj2ELj4ELb1EL18RadixRankAlgorithm2E6__halfEvPKT4_Pijj,@function
_Z11rank_kernelILj193ELj2ELj4ELb1EL18RadixRankAlgorithm2E6__halfEvPKT4_Pijj: ; @_Z11rank_kernelILj193ELj2ELj4ELb1EL18RadixRankAlgorithm2E6__halfEvPKT4_Pijj
; %bb.0:
	s_clause 0x1
	s_load_b128 s[4:7], s[0:1], 0x0
	s_load_b64 s[10:11], s[0:1], 0x10
	v_and_b32_e32 v1, 0x3ff, v0
	s_mov_b32 s3, 0
	s_mul_i32 s2, s15, 0x182
	v_mbcnt_lo_u32_b32 v6, -1, 0
	s_lshl_b64 s[8:9], s[2:3], 1
	v_lshlrev_b32_e32 v5, 2, v1
	v_and_b32_e32 v11, 0xe0, v1
	v_lshlrev_b32_e32 v2, 1, v1
	s_load_b32 s0, s[0:1], 0x24
	v_bfe_u32 v17, v0, 10, 10
	v_bfe_u32 v0, v0, 20, 10
	v_or_b32_e32 v4, v6, v11
	v_and_b32_e32 v8, 0x1c0, v2
	v_cmp_eq_u32_e32 vcc_lo, 0xc0, v11
	s_delay_alu instid0(VALU_DEP_3)
	v_bfe_u32 v3, v4, 4, 27
	v_lshlrev_b32_e32 v4, 1, v4
	s_waitcnt lgkmcnt(0)
	s_add_u32 s4, s4, s8
	s_addc_u32 s5, s5, s9
	v_or_b32_e32 v7, v6, v8
	global_load_b32 v10, v5, s[4:5]
	v_and_b32_e32 v9, 14, v3
	v_lshrrev_b32_e32 v8, 5, v8
	v_cndmask_b32_e64 v12, 32, 1, vcc_lo
	s_delay_alu instid0(VALU_DEP_3) | instskip(NEXT) | instid1(VALU_DEP_3)
	v_add_lshl_u32 v13, v9, v4, 1
	v_add_lshl_u32 v14, v8, v7, 1
	s_delay_alu instid0(VALU_DEP_3)
	v_add_nc_u32_e32 v9, v7, v12
	s_lshr_b32 s8, s0, 16
	s_and_b32 s9, s0, 0xffff
	s_and_b32 s0, s11, 31
	v_mad_u32_u24 v0, v0, s8, v17
	s_cmp_eq_u32 s0, 0
	s_cselect_b32 s1, -1, 0
	s_and_b32 s4, s10, 31
	s_sub_i32 s5, 32, s0
	s_add_i32 s4, s4, s0
	s_delay_alu instid0(SALU_CYCLE_1) | instskip(SKIP_4) | instid1(VALU_DEP_1)
	s_sub_i32 s4, 32, s4
	s_waitcnt vmcnt(0)
	ds_store_b32 v13, v10
	; wave barrier
	ds_load_u16 v12, v14
	v_lshrrev_b32_e32 v10, 5, v9
	v_and_b32_e32 v13, 30, v10
	s_delay_alu instid0(VALU_DEP_1)
	v_add_lshl_u32 v13, v13, v9, 1
	ds_load_u16 v13, v13
	s_waitcnt lgkmcnt(0)
	s_barrier
	buffer_gl0_inv
	v_cmp_lt_i16_e32 vcc_lo, -1, v12
	v_cndmask_b32_e64 v14, -1, 0xffff8000, vcc_lo
	s_delay_alu instid0(VALU_DEP_1) | instskip(NEXT) | instid1(VALU_DEP_1)
	v_xor_b32_e32 v12, v14, v12
	v_cmp_ne_u16_e32 vcc_lo, 0x7fff, v12
	v_cndmask_b32_e32 v12, 0xffff8000, v12, vcc_lo
	s_delay_alu instid0(VALU_DEP_1) | instskip(NEXT) | instid1(VALU_DEP_1)
	v_and_b32_e32 v12, 0xffff, v12
	v_lshlrev_b32_e32 v12, s4, v12
	s_delay_alu instid0(VALU_DEP_1) | instskip(NEXT) | instid1(VALU_DEP_1)
	v_bfe_u32 v12, v12, s5, 16
	v_xor_b32_e32 v12, 15, v12
	s_delay_alu instid0(VALU_DEP_1) | instskip(NEXT) | instid1(VALU_DEP_1)
	v_cndmask_b32_e64 v12, v12, 15, s1
	v_and_b32_e32 v14, 1, v12
	v_lshlrev_b32_e32 v15, 30, v12
	v_lshlrev_b32_e32 v18, 29, v12
	s_delay_alu instid0(VALU_DEP_3) | instskip(NEXT) | instid1(VALU_DEP_1)
	v_add_co_u32 v14, s0, v14, -1
	v_cndmask_b32_e64 v16, 0, 1, s0
	s_delay_alu instid0(VALU_DEP_4) | instskip(SKIP_2) | instid1(VALU_DEP_4)
	v_not_b32_e32 v19, v15
	v_cmp_gt_i32_e64 s0, 0, v15
	v_not_b32_e32 v15, v18
	v_cmp_ne_u32_e32 vcc_lo, 0, v16
	v_lshlrev_b32_e32 v16, 28, v12
	v_ashrrev_i32_e32 v19, 31, v19
	s_delay_alu instid0(VALU_DEP_4)
	v_ashrrev_i32_e32 v15, 31, v15
	v_mul_u32_u24_e32 v12, 7, v12
	v_xor_b32_e32 v14, vcc_lo, v14
	v_cmp_gt_i32_e32 vcc_lo, 0, v18
	v_not_b32_e32 v18, v16
	v_xor_b32_e32 v19, s0, v19
	v_cmp_gt_i32_e64 s0, 0, v16
	v_and_b32_e32 v14, exec_lo, v14
	v_xor_b32_e32 v17, vcc_lo, v15
	v_ashrrev_i32_e32 v16, 31, v18
	s_delay_alu instid0(VALU_DEP_3) | instskip(SKIP_1) | instid1(VALU_DEP_3)
	v_and_b32_e32 v18, v14, v19
	v_mad_u64_u32 v[14:15], null, v0, s9, v[1:2]
	v_xor_b32_e32 v0, s0, v16
	s_delay_alu instid0(VALU_DEP_3) | instskip(NEXT) | instid1(VALU_DEP_3)
	v_dual_mov_b32 v16, 0 :: v_dual_and_b32 v15, v18, v17
	v_lshrrev_b32_e32 v14, 5, v14
	s_delay_alu instid0(VALU_DEP_2)
	v_and_b32_e32 v15, v15, v0
	ds_store_b32 v5, v16 offset:28
	s_waitcnt lgkmcnt(0)
	s_barrier
	v_add_lshl_u32 v12, v12, v14, 2
	v_mbcnt_lo_u32_b32 v0, v15, 0
	v_cmp_ne_u32_e64 s0, 0, v15
	buffer_gl0_inv
	; wave barrier
	v_cmp_eq_u32_e32 vcc_lo, 0, v0
	s_and_b32 s8, vcc_lo, s0
	s_delay_alu instid0(SALU_CYCLE_1)
	s_and_saveexec_b32 s0, s8
	s_cbranch_execz .LBB51_2
; %bb.1:
	v_bcnt_u32_b32 v15, v15, 0
	ds_store_b32 v12, v15 offset:28
.LBB51_2:
	s_or_b32 exec_lo, exec_lo, s0
	v_cmp_lt_i16_e32 vcc_lo, -1, v13
	; wave barrier
	v_cndmask_b32_e64 v15, -1, 0xffff8000, vcc_lo
	s_delay_alu instid0(VALU_DEP_1) | instskip(NEXT) | instid1(VALU_DEP_1)
	v_xor_b32_e32 v13, v15, v13
	v_cmp_ne_u16_e32 vcc_lo, 0x7fff, v13
	v_cndmask_b32_e32 v13, 0xffff8000, v13, vcc_lo
	s_delay_alu instid0(VALU_DEP_1) | instskip(NEXT) | instid1(VALU_DEP_1)
	v_and_b32_e32 v13, 0xffff, v13
	v_lshlrev_b32_e32 v13, s4, v13
	s_delay_alu instid0(VALU_DEP_1) | instskip(NEXT) | instid1(VALU_DEP_1)
	v_bfe_u32 v13, v13, s5, 16
	v_xor_b32_e32 v13, 15, v13
	s_delay_alu instid0(VALU_DEP_1) | instskip(NEXT) | instid1(VALU_DEP_1)
	v_cndmask_b32_e64 v13, v13, 15, s1
	v_and_b32_e32 v15, 1, v13
	v_lshlrev_b32_e32 v16, 30, v13
	v_lshlrev_b32_e32 v18, 29, v13
	s_delay_alu instid0(VALU_DEP_3) | instskip(NEXT) | instid1(VALU_DEP_1)
	v_add_co_u32 v15, s0, v15, -1
	v_cndmask_b32_e64 v17, 0, 1, s0
	s_delay_alu instid0(VALU_DEP_4) | instskip(SKIP_2) | instid1(VALU_DEP_4)
	v_not_b32_e32 v19, v16
	v_cmp_gt_i32_e64 s0, 0, v16
	v_not_b32_e32 v16, v18
	v_cmp_ne_u32_e32 vcc_lo, 0, v17
	v_lshlrev_b32_e32 v17, 28, v13
	v_ashrrev_i32_e32 v19, 31, v19
	s_delay_alu instid0(VALU_DEP_4)
	v_ashrrev_i32_e32 v16, 31, v16
	v_mul_u32_u24_e32 v13, 7, v13
	v_xor_b32_e32 v15, vcc_lo, v15
	v_cmp_gt_i32_e32 vcc_lo, 0, v18
	v_not_b32_e32 v18, v17
	v_xor_b32_e32 v19, s0, v19
	v_cmp_gt_i32_e64 s0, 0, v17
	v_and_b32_e32 v15, exec_lo, v15
	v_xor_b32_e32 v16, vcc_lo, v16
	v_ashrrev_i32_e32 v17, 31, v18
	s_delay_alu instid0(VALU_DEP_3) | instskip(SKIP_1) | instid1(VALU_DEP_3)
	v_and_b32_e32 v18, v15, v19
	v_add_lshl_u32 v15, v13, v14, 2
	v_xor_b32_e32 v14, s0, v17
	s_delay_alu instid0(VALU_DEP_3) | instskip(SKIP_2) | instid1(VALU_DEP_1)
	v_and_b32_e32 v16, v18, v16
	ds_load_b32 v13, v15 offset:28
	; wave barrier
	v_and_b32_e32 v16, v16, v14
	v_mbcnt_lo_u32_b32 v14, v16, 0
	v_cmp_ne_u32_e64 s0, 0, v16
	s_delay_alu instid0(VALU_DEP_2) | instskip(NEXT) | instid1(VALU_DEP_2)
	v_cmp_eq_u32_e32 vcc_lo, 0, v14
	s_and_b32 s1, vcc_lo, s0
	s_delay_alu instid0(SALU_CYCLE_1)
	s_and_saveexec_b32 s0, s1
	s_cbranch_execz .LBB51_4
; %bb.3:
	s_waitcnt lgkmcnt(0)
	v_bcnt_u32_b32 v16, v16, v13
	ds_store_b32 v15, v16 offset:28
.LBB51_4:
	s_or_b32 exec_lo, exec_lo, s0
	; wave barrier
	s_waitcnt lgkmcnt(0)
	s_barrier
	buffer_gl0_inv
	ds_load_b32 v16, v5 offset:28
	v_and_b32_e32 v17, 15, v6
	v_min_u32_e32 v11, 0xa1, v11
	s_mov_b32 s0, exec_lo
	s_delay_alu instid0(VALU_DEP_2) | instskip(NEXT) | instid1(VALU_DEP_2)
	v_cmp_ne_u32_e32 vcc_lo, 0, v17
	v_add_nc_u32_e32 v19, 31, v11
	s_waitcnt lgkmcnt(0)
	v_mov_b32_dpp v18, v16 row_shr:1 row_mask:0xf bank_mask:0xf
	s_delay_alu instid0(VALU_DEP_1) | instskip(SKIP_1) | instid1(VALU_DEP_2)
	v_cndmask_b32_e32 v18, 0, v18, vcc_lo
	v_cmp_lt_u32_e32 vcc_lo, 1, v17
	v_add_nc_u32_e32 v16, v18, v16
	s_delay_alu instid0(VALU_DEP_1) | instskip(NEXT) | instid1(VALU_DEP_1)
	v_mov_b32_dpp v18, v16 row_shr:2 row_mask:0xf bank_mask:0xf
	v_cndmask_b32_e32 v18, 0, v18, vcc_lo
	v_cmp_lt_u32_e32 vcc_lo, 3, v17
	s_delay_alu instid0(VALU_DEP_2) | instskip(NEXT) | instid1(VALU_DEP_1)
	v_add_nc_u32_e32 v16, v16, v18
	v_mov_b32_dpp v18, v16 row_shr:4 row_mask:0xf bank_mask:0xf
	s_delay_alu instid0(VALU_DEP_1) | instskip(SKIP_1) | instid1(VALU_DEP_2)
	v_cndmask_b32_e32 v18, 0, v18, vcc_lo
	v_cmp_lt_u32_e32 vcc_lo, 7, v17
	v_add_nc_u32_e32 v16, v16, v18
	s_delay_alu instid0(VALU_DEP_1) | instskip(NEXT) | instid1(VALU_DEP_1)
	v_mov_b32_dpp v18, v16 row_shr:8 row_mask:0xf bank_mask:0xf
	v_cndmask_b32_e32 v17, 0, v18, vcc_lo
	v_bfe_i32 v18, v6, 4, 1
	s_delay_alu instid0(VALU_DEP_2) | instskip(SKIP_4) | instid1(VALU_DEP_2)
	v_add_nc_u32_e32 v17, v16, v17
	ds_swizzle_b32 v16, v17 offset:swizzle(BROADCAST,32,15)
	s_waitcnt lgkmcnt(0)
	v_and_b32_e32 v18, v18, v16
	v_lshrrev_b32_e32 v16, 5, v1
	v_add_nc_u32_e32 v11, v17, v18
	v_cmpx_eq_u32_e64 v19, v1
	s_xor_b32 s0, exec_lo, s0
	s_cbranch_execz .LBB51_6
; %bb.5:
	v_lshlrev_b32_e32 v17, 2, v16
	ds_store_b32 v17, v11
.LBB51_6:
	s_or_b32 exec_lo, exec_lo, s0
	s_delay_alu instid0(SALU_CYCLE_1)
	s_mov_b32 s0, exec_lo
	s_waitcnt lgkmcnt(0)
	s_barrier
	buffer_gl0_inv
	v_cmpx_gt_u32_e32 7, v1
	s_cbranch_execz .LBB51_8
; %bb.7:
	ds_load_b32 v17, v5
	s_waitcnt lgkmcnt(0)
	v_mov_b32_dpp v19, v17 row_shr:1 row_mask:0xf bank_mask:0xf
	v_and_b32_e32 v18, 7, v6
	s_delay_alu instid0(VALU_DEP_1) | instskip(NEXT) | instid1(VALU_DEP_3)
	v_cmp_ne_u32_e32 vcc_lo, 0, v18
	v_cndmask_b32_e32 v19, 0, v19, vcc_lo
	v_cmp_lt_u32_e32 vcc_lo, 1, v18
	s_delay_alu instid0(VALU_DEP_2) | instskip(NEXT) | instid1(VALU_DEP_1)
	v_add_nc_u32_e32 v17, v19, v17
	v_mov_b32_dpp v19, v17 row_shr:2 row_mask:0xf bank_mask:0xf
	s_delay_alu instid0(VALU_DEP_1) | instskip(SKIP_1) | instid1(VALU_DEP_2)
	v_cndmask_b32_e32 v19, 0, v19, vcc_lo
	v_cmp_lt_u32_e32 vcc_lo, 3, v18
	v_add_nc_u32_e32 v17, v17, v19
	s_delay_alu instid0(VALU_DEP_1) | instskip(NEXT) | instid1(VALU_DEP_1)
	v_mov_b32_dpp v19, v17 row_shr:4 row_mask:0xf bank_mask:0xf
	v_cndmask_b32_e32 v18, 0, v19, vcc_lo
	s_delay_alu instid0(VALU_DEP_1)
	v_add_nc_u32_e32 v17, v17, v18
	ds_store_b32 v5, v17
.LBB51_8:
	s_or_b32 exec_lo, exec_lo, s0
	v_cmp_lt_u32_e32 vcc_lo, 31, v1
	v_mov_b32_e32 v1, 0
	s_waitcnt lgkmcnt(0)
	s_barrier
	buffer_gl0_inv
	s_and_saveexec_b32 s0, vcc_lo
	s_cbranch_execz .LBB51_10
; %bb.9:
	v_lshl_add_u32 v1, v16, 2, -4
	ds_load_b32 v1, v1
.LBB51_10:
	s_or_b32 exec_lo, exec_lo, s0
	v_add_nc_u32_e32 v16, -1, v6
	v_add_lshl_u32 v3, v3, v4, 2
	s_lshl_b64 s[0:1], s[2:3], 2
	v_lshlrev_b32_e32 v2, 2, v2
	s_add_u32 s0, s6, s0
	v_cmp_gt_i32_e32 vcc_lo, 0, v16
	s_addc_u32 s1, s7, s1
	s_waitcnt lgkmcnt(0)
	v_dual_cndmask_b32 v16, v16, v6 :: v_dual_add_nc_u32 v11, v1, v11
	v_cmp_eq_u32_e32 vcc_lo, 0, v6
	v_add_lshl_u32 v6, v8, v7, 2
	v_add_lshl_u32 v7, v10, v9, 2
	s_delay_alu instid0(VALU_DEP_4)
	v_lshlrev_b32_e32 v16, 2, v16
	ds_bpermute_b32 v11, v16, v11
	s_waitcnt lgkmcnt(0)
	v_cndmask_b32_e32 v1, v11, v1, vcc_lo
	ds_store_b32 v5, v1 offset:28
	s_waitcnt lgkmcnt(0)
	s_barrier
	buffer_gl0_inv
	ds_load_b32 v1, v12 offset:28
	ds_load_b32 v5, v15 offset:28
	s_waitcnt lgkmcnt(0)
	s_barrier
	buffer_gl0_inv
	v_add_nc_u32_e32 v0, v1, v0
	v_add3_u32 v1, v14, v13, v5
	ds_store_b32 v6, v0
	ds_store_b32 v7, v1
	; wave barrier
	ds_load_2addr_b32 v[0:1], v3 offset1:1
	s_waitcnt lgkmcnt(0)
	global_store_b64 v2, v[0:1], s[0:1]
	s_nop 0
	s_sendmsg sendmsg(MSG_DEALLOC_VGPRS)
	s_endpgm
	.section	.rodata,"a",@progbits
	.p2align	6, 0x0
	.amdhsa_kernel _Z11rank_kernelILj193ELj2ELj4ELb1EL18RadixRankAlgorithm2E6__halfEvPKT4_Pijj
		.amdhsa_group_segment_fixed_size 1600
		.amdhsa_private_segment_fixed_size 0
		.amdhsa_kernarg_size 280
		.amdhsa_user_sgpr_count 15
		.amdhsa_user_sgpr_dispatch_ptr 0
		.amdhsa_user_sgpr_queue_ptr 0
		.amdhsa_user_sgpr_kernarg_segment_ptr 1
		.amdhsa_user_sgpr_dispatch_id 0
		.amdhsa_user_sgpr_private_segment_size 0
		.amdhsa_wavefront_size32 1
		.amdhsa_uses_dynamic_stack 0
		.amdhsa_enable_private_segment 0
		.amdhsa_system_sgpr_workgroup_id_x 1
		.amdhsa_system_sgpr_workgroup_id_y 0
		.amdhsa_system_sgpr_workgroup_id_z 0
		.amdhsa_system_sgpr_workgroup_info 0
		.amdhsa_system_vgpr_workitem_id 2
		.amdhsa_next_free_vgpr 20
		.amdhsa_next_free_sgpr 16
		.amdhsa_reserve_vcc 1
		.amdhsa_float_round_mode_32 0
		.amdhsa_float_round_mode_16_64 0
		.amdhsa_float_denorm_mode_32 3
		.amdhsa_float_denorm_mode_16_64 3
		.amdhsa_dx10_clamp 1
		.amdhsa_ieee_mode 1
		.amdhsa_fp16_overflow 0
		.amdhsa_workgroup_processor_mode 1
		.amdhsa_memory_ordered 1
		.amdhsa_forward_progress 0
		.amdhsa_shared_vgpr_count 0
		.amdhsa_exception_fp_ieee_invalid_op 0
		.amdhsa_exception_fp_denorm_src 0
		.amdhsa_exception_fp_ieee_div_zero 0
		.amdhsa_exception_fp_ieee_overflow 0
		.amdhsa_exception_fp_ieee_underflow 0
		.amdhsa_exception_fp_ieee_inexact 0
		.amdhsa_exception_int_div_zero 0
	.end_amdhsa_kernel
	.section	.text._Z11rank_kernelILj193ELj2ELj4ELb1EL18RadixRankAlgorithm2E6__halfEvPKT4_Pijj,"axG",@progbits,_Z11rank_kernelILj193ELj2ELj4ELb1EL18RadixRankAlgorithm2E6__halfEvPKT4_Pijj,comdat
.Lfunc_end51:
	.size	_Z11rank_kernelILj193ELj2ELj4ELb1EL18RadixRankAlgorithm2E6__halfEvPKT4_Pijj, .Lfunc_end51-_Z11rank_kernelILj193ELj2ELj4ELb1EL18RadixRankAlgorithm2E6__halfEvPKT4_Pijj
                                        ; -- End function
	.section	.AMDGPU.csdata,"",@progbits
; Kernel info:
; codeLenInByte = 1556
; NumSgprs: 18
; NumVgprs: 20
; ScratchSize: 0
; MemoryBound: 0
; FloatMode: 240
; IeeeMode: 1
; LDSByteSize: 1600 bytes/workgroup (compile time only)
; SGPRBlocks: 2
; VGPRBlocks: 2
; NumSGPRsForWavesPerEU: 18
; NumVGPRsForWavesPerEU: 20
; Occupancy: 16
; WaveLimiterHint : 0
; COMPUTE_PGM_RSRC2:SCRATCH_EN: 0
; COMPUTE_PGM_RSRC2:USER_SGPR: 15
; COMPUTE_PGM_RSRC2:TRAP_HANDLER: 0
; COMPUTE_PGM_RSRC2:TGID_X_EN: 1
; COMPUTE_PGM_RSRC2:TGID_Y_EN: 0
; COMPUTE_PGM_RSRC2:TGID_Z_EN: 0
; COMPUTE_PGM_RSRC2:TIDIG_COMP_CNT: 2
	.section	.text._Z11rank_kernelILj162ELj2ELj6ELb1EL18RadixRankAlgorithm2EjEvPKT4_Pijj,"axG",@progbits,_Z11rank_kernelILj162ELj2ELj6ELb1EL18RadixRankAlgorithm2EjEvPKT4_Pijj,comdat
	.protected	_Z11rank_kernelILj162ELj2ELj6ELb1EL18RadixRankAlgorithm2EjEvPKT4_Pijj ; -- Begin function _Z11rank_kernelILj162ELj2ELj6ELb1EL18RadixRankAlgorithm2EjEvPKT4_Pijj
	.globl	_Z11rank_kernelILj162ELj2ELj6ELb1EL18RadixRankAlgorithm2EjEvPKT4_Pijj
	.p2align	8
	.type	_Z11rank_kernelILj162ELj2ELj6ELb1EL18RadixRankAlgorithm2EjEvPKT4_Pijj,@function
_Z11rank_kernelILj162ELj2ELj6ELb1EL18RadixRankAlgorithm2EjEvPKT4_Pijj: ; @_Z11rank_kernelILj162ELj2ELj6ELb1EL18RadixRankAlgorithm2EjEvPKT4_Pijj
; %bb.0:
	s_clause 0x1
	s_load_b128 s[4:7], s[0:1], 0x0
	s_load_b64 s[8:9], s[0:1], 0x10
	v_and_b32_e32 v1, 0x3ff, v0
	s_mov_b32 s3, 0
	s_mul_i32 s2, s15, 0x144
	v_mbcnt_lo_u32_b32 v6, -1, 0
	s_lshl_b64 s[2:3], s[2:3], 2
	v_lshlrev_b32_e32 v2, 3, v1
	v_and_b32_e32 v9, 0xe0, v1
	v_lshlrev_b32_e32 v4, 1, v1
	s_load_b32 s0, s[0:1], 0x24
	s_delay_alu instid0(VALU_DEP_2) | instskip(NEXT) | instid1(VALU_DEP_2)
	v_or_b32_e32 v5, v6, v9
	v_and_b32_e32 v7, 0x1c0, v4
	v_cmp_eq_u32_e32 vcc_lo, 0xa0, v9
	s_delay_alu instid0(VALU_DEP_3)
	v_lshlrev_b32_e32 v8, 1, v5
	v_bfe_u32 v5, v5, 4, 27
	s_waitcnt lgkmcnt(0)
	s_add_u32 s4, s4, s2
	s_addc_u32 s5, s5, s3
	v_or_b32_e32 v10, v6, v7
	global_load_b64 v[2:3], v2, s[4:5]
	v_lshrrev_b32_e32 v7, 5, v7
	v_add_lshl_u32 v5, v5, v8, 2
	v_cndmask_b32_e64 v8, 32, 2, vcc_lo
	s_delay_alu instid0(VALU_DEP_3) | instskip(SKIP_3) | instid1(SALU_CYCLE_1)
	v_add_lshl_u32 v7, v7, v10, 2
	s_lshr_b32 s10, s0, 16
	s_and_b32 s11, s0, 0xffff
	s_and_b32 s0, s9, 31
	s_cmp_eq_u32 s0, 0
	s_cselect_b32 s1, -1, 0
	s_and_b32 s4, s8, 31
	s_sub_i32 s5, 32, s0
	s_add_i32 s4, s4, s0
	s_delay_alu instid0(SALU_CYCLE_1)
	s_sub_i32 s4, 32, s4
	s_waitcnt vmcnt(0)
	ds_store_2addr_b32 v5, v2, v3 offset1:1
	; wave barrier
	ds_load_b32 v3, v7
	v_add_nc_u32_e32 v2, v10, v8
	v_bfe_u32 v10, v0, 10, 10
	v_bfe_u32 v0, v0, 20, 10
	s_delay_alu instid0(VALU_DEP_3) | instskip(NEXT) | instid1(VALU_DEP_2)
	v_lshrrev_b32_e32 v8, 5, v2
	v_mad_u32_u24 v0, v0, s10, v10
	s_delay_alu instid0(VALU_DEP_2)
	v_add_lshl_u32 v8, v8, v2, 2
	ds_load_b32 v2, v8
	s_waitcnt lgkmcnt(0)
	s_barrier
	buffer_gl0_inv
	v_lshlrev_b32_e32 v3, s4, v3
	s_delay_alu instid0(VALU_DEP_1) | instskip(NEXT) | instid1(VALU_DEP_1)
	v_lshrrev_b32_e32 v3, s5, v3
	v_xor_b32_e32 v3, 63, v3
	s_delay_alu instid0(VALU_DEP_1) | instskip(NEXT) | instid1(VALU_DEP_1)
	v_cndmask_b32_e64 v13, v3, 63, s1
	v_and_b32_e32 v3, 1, v13
	v_lshlrev_b32_e32 v11, 30, v13
	v_lshlrev_b32_e32 v14, 29, v13
	;; [unrolled: 1-line block ×4, first 2 shown]
	v_add_co_u32 v3, s0, v3, -1
	s_delay_alu instid0(VALU_DEP_1) | instskip(SKIP_3) | instid1(VALU_DEP_4)
	v_cndmask_b32_e64 v12, 0, 1, s0
	v_not_b32_e32 v17, v11
	v_cmp_gt_i32_e64 s0, 0, v11
	v_not_b32_e32 v11, v14
	v_cmp_ne_u32_e32 vcc_lo, 0, v12
	s_delay_alu instid0(VALU_DEP_4) | instskip(SKIP_1) | instid1(VALU_DEP_4)
	v_ashrrev_i32_e32 v17, 31, v17
	v_lshlrev_b32_e32 v12, 26, v13
	v_ashrrev_i32_e32 v11, 31, v11
	v_xor_b32_e32 v3, vcc_lo, v3
	v_cmp_gt_i32_e32 vcc_lo, 0, v14
	v_not_b32_e32 v14, v15
	v_xor_b32_e32 v17, s0, v17
	v_cmp_gt_i32_e64 s0, 0, v15
	v_and_b32_e32 v3, exec_lo, v3
	v_not_b32_e32 v15, v16
	v_ashrrev_i32_e32 v14, 31, v14
	v_xor_b32_e32 v11, vcc_lo, v11
	v_cmp_gt_i32_e32 vcc_lo, 0, v16
	v_and_b32_e32 v3, v3, v17
	v_not_b32_e32 v16, v12
	v_ashrrev_i32_e32 v15, 31, v15
	v_xor_b32_e32 v14, s0, v14
	v_cmp_gt_i32_e64 s0, 0, v12
	v_and_b32_e32 v3, v3, v11
	v_ashrrev_i32_e32 v12, 31, v16
	v_xor_b32_e32 v15, vcc_lo, v15
	v_mad_u64_u32 v[10:11], null, v0, s11, v[1:2]
	s_delay_alu instid0(VALU_DEP_4) | instskip(NEXT) | instid1(VALU_DEP_4)
	v_and_b32_e32 v3, v3, v14
	v_xor_b32_e32 v11, s0, v12
	v_mul_u32_u24_e32 v14, 3, v1
	s_delay_alu instid0(VALU_DEP_3) | instskip(NEXT) | instid1(VALU_DEP_2)
	v_and_b32_e32 v3, v3, v15
	v_dual_mov_b32 v15, 0 :: v_dual_lshlrev_b32 v0, 2, v14
	ds_store_2addr_b32 v0, v15, v15 offset0:6 offset1:7
	ds_store_b32 v0, v15 offset:32
	v_and_b32_e32 v12, v3, v11
	v_mul_lo_u32 v11, v13, 7
	v_lshrrev_b32_e32 v3, 5, v10
	s_waitcnt lgkmcnt(0)
	s_barrier
	v_mbcnt_lo_u32_b32 v10, v12, 0
	v_cmp_ne_u32_e64 s0, 0, v12
	buffer_gl0_inv
	v_add_lshl_u32 v11, v3, v11, 2
	v_cmp_eq_u32_e32 vcc_lo, 0, v10
	; wave barrier
	s_and_b32 s8, s0, vcc_lo
	s_delay_alu instid0(SALU_CYCLE_1)
	s_and_saveexec_b32 s0, s8
	s_cbranch_execz .LBB52_2
; %bb.1:
	v_bcnt_u32_b32 v12, v12, 0
	ds_store_b32 v11, v12 offset:24
.LBB52_2:
	s_or_b32 exec_lo, exec_lo, s0
	v_lshlrev_b32_e32 v2, s4, v2
	; wave barrier
	s_delay_alu instid0(VALU_DEP_1) | instskip(NEXT) | instid1(VALU_DEP_1)
	v_lshrrev_b32_e32 v2, s5, v2
	v_xor_b32_e32 v2, 63, v2
	s_delay_alu instid0(VALU_DEP_1) | instskip(NEXT) | instid1(VALU_DEP_1)
	v_cndmask_b32_e64 v2, v2, 63, s1
	v_and_b32_e32 v12, 1, v2
	v_lshlrev_b32_e32 v14, 30, v2
	v_lshlrev_b32_e32 v16, 29, v2
	;; [unrolled: 1-line block ×4, first 2 shown]
	v_add_co_u32 v12, s0, v12, -1
	s_delay_alu instid0(VALU_DEP_1)
	v_cndmask_b32_e64 v15, 0, 1, s0
	v_not_b32_e32 v19, v14
	v_cmp_gt_i32_e64 s0, 0, v14
	v_not_b32_e32 v14, v16
	v_mul_lo_u32 v13, v2, 7
	v_cmp_ne_u32_e32 vcc_lo, 0, v15
	v_ashrrev_i32_e32 v15, 31, v19
	v_lshlrev_b32_e32 v2, 26, v2
	v_ashrrev_i32_e32 v14, 31, v14
	v_xor_b32_e32 v12, vcc_lo, v12
	v_cmp_gt_i32_e32 vcc_lo, 0, v16
	v_not_b32_e32 v16, v17
	v_xor_b32_e32 v15, s0, v15
	v_cmp_gt_i32_e64 s0, 0, v17
	v_and_b32_e32 v12, exec_lo, v12
	v_not_b32_e32 v17, v18
	v_ashrrev_i32_e32 v16, 31, v16
	v_xor_b32_e32 v14, vcc_lo, v14
	v_cmp_gt_i32_e32 vcc_lo, 0, v18
	v_and_b32_e32 v12, v12, v15
	v_not_b32_e32 v15, v2
	v_ashrrev_i32_e32 v17, 31, v17
	v_xor_b32_e32 v16, s0, v16
	v_cmp_gt_i32_e64 s0, 0, v2
	v_and_b32_e32 v12, v12, v14
	v_ashrrev_i32_e32 v2, 31, v15
	v_xor_b32_e32 v14, vcc_lo, v17
	s_delay_alu instid0(VALU_DEP_3) | instskip(SKIP_1) | instid1(VALU_DEP_4)
	v_and_b32_e32 v15, v12, v16
	v_add_lshl_u32 v12, v3, v13, 2
	v_xor_b32_e32 v2, s0, v2
	s_delay_alu instid0(VALU_DEP_3) | instskip(SKIP_3) | instid1(VALU_DEP_1)
	v_and_b32_e32 v3, v15, v14
	ds_load_b32 v13, v12 offset:24
	v_add_nc_u32_e32 v15, 24, v0
	; wave barrier
	v_and_b32_e32 v2, v3, v2
	v_mbcnt_lo_u32_b32 v14, v2, 0
	v_cmp_ne_u32_e64 s0, 0, v2
	s_delay_alu instid0(VALU_DEP_2) | instskip(NEXT) | instid1(VALU_DEP_2)
	v_cmp_eq_u32_e32 vcc_lo, 0, v14
	s_and_b32 s1, s0, vcc_lo
	s_delay_alu instid0(SALU_CYCLE_1)
	s_and_saveexec_b32 s0, s1
	s_cbranch_execz .LBB52_4
; %bb.3:
	s_waitcnt lgkmcnt(0)
	v_bcnt_u32_b32 v2, v2, v13
	ds_store_b32 v12, v2 offset:24
.LBB52_4:
	s_or_b32 exec_lo, exec_lo, s0
	; wave barrier
	s_waitcnt lgkmcnt(0)
	s_barrier
	buffer_gl0_inv
	ds_load_2addr_b32 v[2:3], v0 offset0:6 offset1:7
	ds_load_b32 v16, v15 offset:8
	v_and_b32_e32 v17, 15, v6
	v_min_u32_e32 v9, 0x82, v9
	s_mov_b32 s0, exec_lo
	s_delay_alu instid0(VALU_DEP_2) | instskip(NEXT) | instid1(VALU_DEP_2)
	v_cmp_ne_u32_e32 vcc_lo, 0, v17
	v_add_nc_u32_e32 v19, 31, v9
	s_waitcnt lgkmcnt(0)
	v_add3_u32 v16, v3, v2, v16
	s_delay_alu instid0(VALU_DEP_1) | instskip(NEXT) | instid1(VALU_DEP_1)
	v_mov_b32_dpp v18, v16 row_shr:1 row_mask:0xf bank_mask:0xf
	v_cndmask_b32_e32 v18, 0, v18, vcc_lo
	v_cmp_lt_u32_e32 vcc_lo, 1, v17
	s_delay_alu instid0(VALU_DEP_2) | instskip(NEXT) | instid1(VALU_DEP_1)
	v_add_nc_u32_e32 v16, v18, v16
	v_mov_b32_dpp v18, v16 row_shr:2 row_mask:0xf bank_mask:0xf
	s_delay_alu instid0(VALU_DEP_1) | instskip(SKIP_1) | instid1(VALU_DEP_2)
	v_cndmask_b32_e32 v18, 0, v18, vcc_lo
	v_cmp_lt_u32_e32 vcc_lo, 3, v17
	v_add_nc_u32_e32 v16, v16, v18
	s_delay_alu instid0(VALU_DEP_1) | instskip(NEXT) | instid1(VALU_DEP_1)
	v_mov_b32_dpp v18, v16 row_shr:4 row_mask:0xf bank_mask:0xf
	v_cndmask_b32_e32 v18, 0, v18, vcc_lo
	v_cmp_lt_u32_e32 vcc_lo, 7, v17
	s_delay_alu instid0(VALU_DEP_2) | instskip(NEXT) | instid1(VALU_DEP_1)
	v_add_nc_u32_e32 v16, v16, v18
	v_mov_b32_dpp v18, v16 row_shr:8 row_mask:0xf bank_mask:0xf
	s_delay_alu instid0(VALU_DEP_1) | instskip(SKIP_1) | instid1(VALU_DEP_2)
	v_cndmask_b32_e32 v17, 0, v18, vcc_lo
	v_bfe_i32 v18, v6, 4, 1
	v_add_nc_u32_e32 v17, v16, v17
	ds_swizzle_b32 v16, v17 offset:swizzle(BROADCAST,32,15)
	s_waitcnt lgkmcnt(0)
	v_and_b32_e32 v18, v18, v16
	v_lshrrev_b32_e32 v16, 5, v1
	s_delay_alu instid0(VALU_DEP_2)
	v_add_nc_u32_e32 v9, v17, v18
	v_cmpx_eq_u32_e64 v19, v1
	s_cbranch_execz .LBB52_6
; %bb.5:
	s_delay_alu instid0(VALU_DEP_3)
	v_lshlrev_b32_e32 v17, 2, v16
	ds_store_b32 v17, v9
.LBB52_6:
	s_or_b32 exec_lo, exec_lo, s0
	s_delay_alu instid0(SALU_CYCLE_1)
	s_mov_b32 s0, exec_lo
	s_waitcnt lgkmcnt(0)
	s_barrier
	buffer_gl0_inv
	v_cmpx_gt_u32_e32 6, v1
	s_cbranch_execz .LBB52_8
; %bb.7:
	v_and_b32_e32 v19, 7, v6
	s_delay_alu instid0(VALU_DEP_1) | instskip(SKIP_4) | instid1(VALU_DEP_1)
	v_cmp_ne_u32_e32 vcc_lo, 0, v19
	v_lshlrev_b32_e32 v17, 2, v1
	ds_load_b32 v18, v17
	s_waitcnt lgkmcnt(0)
	v_mov_b32_dpp v20, v18 row_shr:1 row_mask:0xf bank_mask:0xf
	v_cndmask_b32_e32 v20, 0, v20, vcc_lo
	v_cmp_lt_u32_e32 vcc_lo, 1, v19
	s_delay_alu instid0(VALU_DEP_2) | instskip(NEXT) | instid1(VALU_DEP_1)
	v_add_nc_u32_e32 v18, v20, v18
	v_mov_b32_dpp v20, v18 row_shr:2 row_mask:0xf bank_mask:0xf
	s_delay_alu instid0(VALU_DEP_1) | instskip(SKIP_1) | instid1(VALU_DEP_2)
	v_cndmask_b32_e32 v20, 0, v20, vcc_lo
	v_cmp_lt_u32_e32 vcc_lo, 3, v19
	v_add_nc_u32_e32 v18, v18, v20
	s_delay_alu instid0(VALU_DEP_1) | instskip(NEXT) | instid1(VALU_DEP_1)
	v_mov_b32_dpp v20, v18 row_shr:4 row_mask:0xf bank_mask:0xf
	v_cndmask_b32_e32 v19, 0, v20, vcc_lo
	s_delay_alu instid0(VALU_DEP_1)
	v_add_nc_u32_e32 v18, v18, v19
	ds_store_b32 v17, v18
.LBB52_8:
	s_or_b32 exec_lo, exec_lo, s0
	v_mov_b32_e32 v17, 0
	s_mov_b32 s0, exec_lo
	s_waitcnt lgkmcnt(0)
	s_barrier
	buffer_gl0_inv
	v_cmpx_lt_u32_e32 31, v1
	s_cbranch_execz .LBB52_10
; %bb.9:
	v_lshl_add_u32 v16, v16, 2, -4
	ds_load_b32 v17, v16
.LBB52_10:
	s_or_b32 exec_lo, exec_lo, s0
	v_add_nc_u32_e32 v16, -1, v6
	s_add_u32 s0, s6, s2
	s_addc_u32 s1, s7, s3
	s_waitcnt lgkmcnt(0)
	v_add_nc_u32_e32 v9, v17, v9
	v_cmp_gt_i32_e32 vcc_lo, 0, v16
	v_cndmask_b32_e32 v16, v16, v6, vcc_lo
	v_cmp_eq_u32_e32 vcc_lo, 0, v6
	s_delay_alu instid0(VALU_DEP_2) | instskip(SKIP_4) | instid1(VALU_DEP_2)
	v_lshlrev_b32_e32 v16, 2, v16
	ds_bpermute_b32 v9, v16, v9
	s_waitcnt lgkmcnt(0)
	v_cndmask_b32_e32 v6, v9, v17, vcc_lo
	v_cmp_ne_u32_e32 vcc_lo, 0, v1
	v_cndmask_b32_e32 v1, 0, v6, vcc_lo
	s_delay_alu instid0(VALU_DEP_1) | instskip(NEXT) | instid1(VALU_DEP_1)
	v_add_nc_u32_e32 v2, v1, v2
	v_add_nc_u32_e32 v3, v2, v3
	ds_store_2addr_b32 v0, v1, v2 offset0:6 offset1:7
	ds_store_b32 v15, v3 offset:8
	s_waitcnt lgkmcnt(0)
	s_barrier
	buffer_gl0_inv
	ds_load_b32 v0, v11 offset:24
	ds_load_b32 v1, v12 offset:24
	s_waitcnt lgkmcnt(0)
	s_barrier
	buffer_gl0_inv
	v_lshlrev_b32_e32 v2, 2, v4
	v_add_nc_u32_e32 v0, v0, v10
	v_add3_u32 v1, v14, v13, v1
	ds_store_b32 v7, v0
	ds_store_b32 v8, v1
	; wave barrier
	ds_load_2addr_b32 v[0:1], v5 offset1:1
	s_waitcnt lgkmcnt(0)
	global_store_b64 v2, v[0:1], s[0:1]
	s_nop 0
	s_sendmsg sendmsg(MSG_DEALLOC_VGPRS)
	s_endpgm
	.section	.rodata,"a",@progbits
	.p2align	6, 0x0
	.amdhsa_kernel _Z11rank_kernelILj162ELj2ELj6ELb1EL18RadixRankAlgorithm2EjEvPKT4_Pijj
		.amdhsa_group_segment_fixed_size 1968
		.amdhsa_private_segment_fixed_size 0
		.amdhsa_kernarg_size 280
		.amdhsa_user_sgpr_count 15
		.amdhsa_user_sgpr_dispatch_ptr 0
		.amdhsa_user_sgpr_queue_ptr 0
		.amdhsa_user_sgpr_kernarg_segment_ptr 1
		.amdhsa_user_sgpr_dispatch_id 0
		.amdhsa_user_sgpr_private_segment_size 0
		.amdhsa_wavefront_size32 1
		.amdhsa_uses_dynamic_stack 0
		.amdhsa_enable_private_segment 0
		.amdhsa_system_sgpr_workgroup_id_x 1
		.amdhsa_system_sgpr_workgroup_id_y 0
		.amdhsa_system_sgpr_workgroup_id_z 0
		.amdhsa_system_sgpr_workgroup_info 0
		.amdhsa_system_vgpr_workitem_id 2
		.amdhsa_next_free_vgpr 21
		.amdhsa_next_free_sgpr 16
		.amdhsa_reserve_vcc 1
		.amdhsa_float_round_mode_32 0
		.amdhsa_float_round_mode_16_64 0
		.amdhsa_float_denorm_mode_32 3
		.amdhsa_float_denorm_mode_16_64 3
		.amdhsa_dx10_clamp 1
		.amdhsa_ieee_mode 1
		.amdhsa_fp16_overflow 0
		.amdhsa_workgroup_processor_mode 1
		.amdhsa_memory_ordered 1
		.amdhsa_forward_progress 0
		.amdhsa_shared_vgpr_count 0
		.amdhsa_exception_fp_ieee_invalid_op 0
		.amdhsa_exception_fp_denorm_src 0
		.amdhsa_exception_fp_ieee_div_zero 0
		.amdhsa_exception_fp_ieee_overflow 0
		.amdhsa_exception_fp_ieee_underflow 0
		.amdhsa_exception_fp_ieee_inexact 0
		.amdhsa_exception_int_div_zero 0
	.end_amdhsa_kernel
	.section	.text._Z11rank_kernelILj162ELj2ELj6ELb1EL18RadixRankAlgorithm2EjEvPKT4_Pijj,"axG",@progbits,_Z11rank_kernelILj162ELj2ELj6ELb1EL18RadixRankAlgorithm2EjEvPKT4_Pijj,comdat
.Lfunc_end52:
	.size	_Z11rank_kernelILj162ELj2ELj6ELb1EL18RadixRankAlgorithm2EjEvPKT4_Pijj, .Lfunc_end52-_Z11rank_kernelILj162ELj2ELj6ELb1EL18RadixRankAlgorithm2EjEvPKT4_Pijj
                                        ; -- End function
	.section	.AMDGPU.csdata,"",@progbits
; Kernel info:
; codeLenInByte = 1580
; NumSgprs: 18
; NumVgprs: 21
; ScratchSize: 0
; MemoryBound: 0
; FloatMode: 240
; IeeeMode: 1
; LDSByteSize: 1968 bytes/workgroup (compile time only)
; SGPRBlocks: 2
; VGPRBlocks: 2
; NumSGPRsForWavesPerEU: 18
; NumVGPRsForWavesPerEU: 21
; Occupancy: 15
; WaveLimiterHint : 0
; COMPUTE_PGM_RSRC2:SCRATCH_EN: 0
; COMPUTE_PGM_RSRC2:USER_SGPR: 15
; COMPUTE_PGM_RSRC2:TRAP_HANDLER: 0
; COMPUTE_PGM_RSRC2:TGID_X_EN: 1
; COMPUTE_PGM_RSRC2:TGID_Y_EN: 0
; COMPUTE_PGM_RSRC2:TGID_Z_EN: 0
; COMPUTE_PGM_RSRC2:TIDIG_COMP_CNT: 2
	.section	.text._Z11rank_kernelILj60ELj1ELj3ELb1EL18RadixRankAlgorithm2EfEvPKT4_Pijj,"axG",@progbits,_Z11rank_kernelILj60ELj1ELj3ELb1EL18RadixRankAlgorithm2EfEvPKT4_Pijj,comdat
	.protected	_Z11rank_kernelILj60ELj1ELj3ELb1EL18RadixRankAlgorithm2EfEvPKT4_Pijj ; -- Begin function _Z11rank_kernelILj60ELj1ELj3ELb1EL18RadixRankAlgorithm2EfEvPKT4_Pijj
	.globl	_Z11rank_kernelILj60ELj1ELj3ELb1EL18RadixRankAlgorithm2EfEvPKT4_Pijj
	.p2align	8
	.type	_Z11rank_kernelILj60ELj1ELj3ELb1EL18RadixRankAlgorithm2EfEvPKT4_Pijj,@function
_Z11rank_kernelILj60ELj1ELj3ELb1EL18RadixRankAlgorithm2EfEvPKT4_Pijj: ; @_Z11rank_kernelILj60ELj1ELj3ELb1EL18RadixRankAlgorithm2EfEvPKT4_Pijj
; %bb.0:
	s_clause 0x1
	s_load_b128 s[4:7], s[0:1], 0x0
	s_load_b64 s[8:9], s[0:1], 0x10
	v_and_b32_e32 v1, 0x3ff, v0
	s_mov_b32 s3, 0
	s_mul_i32 s2, s15, 60
	v_mbcnt_lo_u32_b32 v4, -1, 0
	s_lshl_b64 s[2:3], s[2:3], 2
	v_lshlrev_b32_e32 v2, 2, v1
	v_and_b32_e32 v5, 32, v1
	s_load_b32 s0, s[0:1], 0x24
	v_bfe_u32 v10, v0, 10, 10
	v_bfe_u32 v0, v0, 20, 10
	s_delay_alu instid0(VALU_DEP_3) | instskip(NEXT) | instid1(VALU_DEP_1)
	v_or_b32_e32 v3, v4, v5
	v_lshlrev_b32_e32 v3, 2, v3
	s_waitcnt lgkmcnt(0)
	s_add_u32 s4, s4, s2
	s_addc_u32 s5, s5, s3
	s_and_b32 s1, s9, 31
	global_load_b32 v6, v2, s[4:5]
	s_and_b32 s4, s8, 31
	s_delay_alu instid0(SALU_CYCLE_1) | instskip(NEXT) | instid1(SALU_CYCLE_1)
	s_add_i32 s4, s4, s1
	s_sub_i32 s4, 32, s4
	s_and_b32 s5, s0, 0xffff
	s_waitcnt vmcnt(0)
	ds_store_b32 v3, v6
	; wave barrier
	ds_load_b32 v6, v3
	s_waitcnt lgkmcnt(0)
	s_barrier
	buffer_gl0_inv
	v_cmp_lt_i32_e32 vcc_lo, -1, v6
	v_cndmask_b32_e64 v7, -1, 0x80000000, vcc_lo
	s_delay_alu instid0(VALU_DEP_1) | instskip(NEXT) | instid1(VALU_DEP_1)
	v_xor_b32_e32 v6, v7, v6
	v_cmp_ne_u32_e32 vcc_lo, 0x7fffffff, v6
	v_cndmask_b32_e32 v6, 0x80000000, v6, vcc_lo
	s_delay_alu instid0(VALU_DEP_1)
	v_lshlrev_b32_e32 v6, s4, v6
	s_sub_i32 s4, 32, s1
	s_delay_alu instid0(VALU_DEP_1) | instid1(SALU_CYCLE_1)
	v_lshrrev_b32_e32 v6, s4, v6
	s_lshr_b32 s4, s0, 16
	s_cmp_lg_u32 s1, 0
	v_mad_u32_u24 v0, v0, s4, v10
	s_cselect_b32 vcc_lo, -1, 0
	v_xor_b32_e32 v6, 7, v6
	s_delay_alu instid0(VALU_DEP_1) | instskip(NEXT) | instid1(VALU_DEP_1)
	v_cndmask_b32_e32 v8, 7, v6, vcc_lo
	v_and_b32_e32 v6, 1, v8
	v_lshlrev_b32_e32 v7, 30, v8
	v_lshlrev_b32_e32 v11, 29, v8
	v_lshl_add_u32 v8, v8, 1, v8
	s_delay_alu instid0(VALU_DEP_4) | instskip(NEXT) | instid1(VALU_DEP_1)
	v_add_co_u32 v6, s0, v6, -1
	v_cndmask_b32_e64 v9, 0, 1, s0
	v_not_b32_e32 v12, v7
	v_cmp_gt_i32_e64 s0, 0, v7
	v_not_b32_e32 v7, v11
	s_delay_alu instid0(VALU_DEP_4) | instskip(NEXT) | instid1(VALU_DEP_4)
	v_cmp_ne_u32_e32 vcc_lo, 0, v9
	v_ashrrev_i32_e32 v9, 31, v12
	s_delay_alu instid0(VALU_DEP_3) | instskip(SKIP_2) | instid1(VALU_DEP_4)
	v_ashrrev_i32_e32 v10, 31, v7
	v_xor_b32_e32 v6, vcc_lo, v6
	v_cmp_gt_i32_e32 vcc_lo, 0, v11
	v_xor_b32_e32 v9, s0, v9
	s_delay_alu instid0(VALU_DEP_3) | instskip(SKIP_2) | instid1(VALU_DEP_3)
	v_and_b32_e32 v11, exec_lo, v6
	v_mad_u64_u32 v[6:7], null, v0, s5, v[1:2]
	v_xor_b32_e32 v0, vcc_lo, v10
	v_and_b32_e32 v7, v11, v9
	v_mov_b32_e32 v9, 0
	s_delay_alu instid0(VALU_DEP_4) | instskip(NEXT) | instid1(VALU_DEP_3)
	v_lshrrev_b32_e32 v6, 5, v6
	v_and_b32_e32 v7, v7, v0
	ds_store_b32 v2, v9 offset:8
	s_waitcnt lgkmcnt(0)
	s_barrier
	v_add_lshl_u32 v6, v8, v6, 2
	v_mbcnt_lo_u32_b32 v0, v7, 0
	v_cmp_ne_u32_e64 s0, 0, v7
	buffer_gl0_inv
	; wave barrier
	v_cmp_eq_u32_e32 vcc_lo, 0, v0
	s_and_b32 s1, s0, vcc_lo
	s_delay_alu instid0(SALU_CYCLE_1)
	s_and_saveexec_b32 s0, s1
	s_cbranch_execz .LBB53_2
; %bb.1:
	v_bcnt_u32_b32 v7, v7, 0
	ds_store_b32 v6, v7 offset:8
.LBB53_2:
	s_or_b32 exec_lo, exec_lo, s0
	; wave barrier
	s_waitcnt lgkmcnt(0)
	s_barrier
	buffer_gl0_inv
	ds_load_b32 v7, v2 offset:8
	v_min_u32_e32 v5, 28, v5
	s_mov_b32 s0, exec_lo
	s_delay_alu instid0(VALU_DEP_1) | instskip(SKIP_3) | instid1(VALU_DEP_1)
	v_add_nc_u32_e32 v10, 31, v5
	s_waitcnt lgkmcnt(0)
	v_mov_b32_dpp v9, v7 row_shr:1 row_mask:0xf bank_mask:0xf
	v_and_b32_e32 v8, 15, v4
	v_cmp_ne_u32_e32 vcc_lo, 0, v8
	s_delay_alu instid0(VALU_DEP_3) | instskip(SKIP_1) | instid1(VALU_DEP_2)
	v_cndmask_b32_e32 v9, 0, v9, vcc_lo
	v_cmp_lt_u32_e32 vcc_lo, 1, v8
	v_add_nc_u32_e32 v7, v9, v7
	s_delay_alu instid0(VALU_DEP_1) | instskip(NEXT) | instid1(VALU_DEP_1)
	v_mov_b32_dpp v9, v7 row_shr:2 row_mask:0xf bank_mask:0xf
	v_cndmask_b32_e32 v9, 0, v9, vcc_lo
	v_cmp_lt_u32_e32 vcc_lo, 3, v8
	s_delay_alu instid0(VALU_DEP_2) | instskip(NEXT) | instid1(VALU_DEP_1)
	v_add_nc_u32_e32 v7, v7, v9
	v_mov_b32_dpp v9, v7 row_shr:4 row_mask:0xf bank_mask:0xf
	s_delay_alu instid0(VALU_DEP_1) | instskip(SKIP_1) | instid1(VALU_DEP_2)
	v_cndmask_b32_e32 v9, 0, v9, vcc_lo
	v_cmp_lt_u32_e32 vcc_lo, 7, v8
	v_add_nc_u32_e32 v7, v7, v9
	s_delay_alu instid0(VALU_DEP_1) | instskip(NEXT) | instid1(VALU_DEP_1)
	v_mov_b32_dpp v9, v7 row_shr:8 row_mask:0xf bank_mask:0xf
	v_cndmask_b32_e32 v8, 0, v9, vcc_lo
	v_bfe_i32 v9, v4, 4, 1
	s_delay_alu instid0(VALU_DEP_2) | instskip(SKIP_4) | instid1(VALU_DEP_2)
	v_add_nc_u32_e32 v8, v7, v8
	ds_swizzle_b32 v7, v8 offset:swizzle(BROADCAST,32,15)
	s_waitcnt lgkmcnt(0)
	v_and_b32_e32 v9, v9, v7
	v_lshrrev_b32_e32 v7, 5, v1
	v_add_nc_u32_e32 v5, v8, v9
	v_cmpx_eq_u32_e64 v10, v1
	s_cbranch_execz .LBB53_4
; %bb.3:
	s_delay_alu instid0(VALU_DEP_3)
	v_lshlrev_b32_e32 v8, 2, v7
	ds_store_b32 v8, v5
.LBB53_4:
	s_or_b32 exec_lo, exec_lo, s0
	s_delay_alu instid0(SALU_CYCLE_1)
	s_mov_b32 s0, exec_lo
	s_waitcnt lgkmcnt(0)
	s_barrier
	buffer_gl0_inv
	v_cmpx_gt_u32_e32 2, v1
	s_cbranch_execz .LBB53_6
; %bb.5:
	ds_load_b32 v8, v2
	v_bfe_i32 v9, v4, 0, 1
	s_waitcnt lgkmcnt(0)
	v_mov_b32_dpp v10, v8 row_shr:1 row_mask:0xf bank_mask:0xf
	s_delay_alu instid0(VALU_DEP_1) | instskip(NEXT) | instid1(VALU_DEP_1)
	v_and_b32_e32 v9, v9, v10
	v_add_nc_u32_e32 v8, v9, v8
	ds_store_b32 v2, v8
.LBB53_6:
	s_or_b32 exec_lo, exec_lo, s0
	v_cmp_lt_u32_e32 vcc_lo, 31, v1
	v_mov_b32_e32 v1, 0
	s_waitcnt lgkmcnt(0)
	s_barrier
	buffer_gl0_inv
	s_and_saveexec_b32 s0, vcc_lo
	s_cbranch_execz .LBB53_8
; %bb.7:
	v_lshl_add_u32 v1, v7, 2, -4
	ds_load_b32 v1, v1
.LBB53_8:
	s_or_b32 exec_lo, exec_lo, s0
	v_add_nc_u32_e32 v7, -1, v4
	s_waitcnt lgkmcnt(0)
	v_add_nc_u32_e32 v5, v1, v5
	s_add_u32 s0, s6, s2
	s_addc_u32 s1, s7, s3
	v_cmp_gt_i32_e32 vcc_lo, 0, v7
	v_cndmask_b32_e32 v7, v7, v4, vcc_lo
	v_cmp_eq_u32_e32 vcc_lo, 0, v4
	s_delay_alu instid0(VALU_DEP_2)
	v_lshlrev_b32_e32 v7, 2, v7
	ds_bpermute_b32 v5, v7, v5
	s_waitcnt lgkmcnt(0)
	v_cndmask_b32_e32 v1, v5, v1, vcc_lo
	ds_store_b32 v2, v1 offset:8
	s_waitcnt lgkmcnt(0)
	s_barrier
	buffer_gl0_inv
	ds_load_b32 v1, v6 offset:8
	s_waitcnt lgkmcnt(0)
	s_barrier
	buffer_gl0_inv
	v_add_nc_u32_e32 v0, v1, v0
	ds_store_b32 v3, v0
	; wave barrier
	ds_load_b32 v0, v3
	s_waitcnt lgkmcnt(0)
	global_store_b32 v2, v0, s[0:1]
	s_nop 0
	s_sendmsg sendmsg(MSG_DEALLOC_VGPRS)
	s_endpgm
	.section	.rodata,"a",@progbits
	.p2align	6, 0x0
	.amdhsa_kernel _Z11rank_kernelILj60ELj1ELj3ELb1EL18RadixRankAlgorithm2EfEvPKT4_Pijj
		.amdhsa_group_segment_fixed_size 256
		.amdhsa_private_segment_fixed_size 0
		.amdhsa_kernarg_size 280
		.amdhsa_user_sgpr_count 15
		.amdhsa_user_sgpr_dispatch_ptr 0
		.amdhsa_user_sgpr_queue_ptr 0
		.amdhsa_user_sgpr_kernarg_segment_ptr 1
		.amdhsa_user_sgpr_dispatch_id 0
		.amdhsa_user_sgpr_private_segment_size 0
		.amdhsa_wavefront_size32 1
		.amdhsa_uses_dynamic_stack 0
		.amdhsa_enable_private_segment 0
		.amdhsa_system_sgpr_workgroup_id_x 1
		.amdhsa_system_sgpr_workgroup_id_y 0
		.amdhsa_system_sgpr_workgroup_id_z 0
		.amdhsa_system_sgpr_workgroup_info 0
		.amdhsa_system_vgpr_workitem_id 2
		.amdhsa_next_free_vgpr 13
		.amdhsa_next_free_sgpr 16
		.amdhsa_reserve_vcc 1
		.amdhsa_float_round_mode_32 0
		.amdhsa_float_round_mode_16_64 0
		.amdhsa_float_denorm_mode_32 3
		.amdhsa_float_denorm_mode_16_64 3
		.amdhsa_dx10_clamp 1
		.amdhsa_ieee_mode 1
		.amdhsa_fp16_overflow 0
		.amdhsa_workgroup_processor_mode 1
		.amdhsa_memory_ordered 1
		.amdhsa_forward_progress 0
		.amdhsa_shared_vgpr_count 0
		.amdhsa_exception_fp_ieee_invalid_op 0
		.amdhsa_exception_fp_denorm_src 0
		.amdhsa_exception_fp_ieee_div_zero 0
		.amdhsa_exception_fp_ieee_overflow 0
		.amdhsa_exception_fp_ieee_underflow 0
		.amdhsa_exception_fp_ieee_inexact 0
		.amdhsa_exception_int_div_zero 0
	.end_amdhsa_kernel
	.section	.text._Z11rank_kernelILj60ELj1ELj3ELb1EL18RadixRankAlgorithm2EfEvPKT4_Pijj,"axG",@progbits,_Z11rank_kernelILj60ELj1ELj3ELb1EL18RadixRankAlgorithm2EfEvPKT4_Pijj,comdat
.Lfunc_end53:
	.size	_Z11rank_kernelILj60ELj1ELj3ELb1EL18RadixRankAlgorithm2EfEvPKT4_Pijj, .Lfunc_end53-_Z11rank_kernelILj60ELj1ELj3ELb1EL18RadixRankAlgorithm2EfEvPKT4_Pijj
                                        ; -- End function
	.section	.AMDGPU.csdata,"",@progbits
; Kernel info:
; codeLenInByte = 984
; NumSgprs: 18
; NumVgprs: 13
; ScratchSize: 0
; MemoryBound: 0
; FloatMode: 240
; IeeeMode: 1
; LDSByteSize: 256 bytes/workgroup (compile time only)
; SGPRBlocks: 2
; VGPRBlocks: 1
; NumSGPRsForWavesPerEU: 18
; NumVGPRsForWavesPerEU: 13
; Occupancy: 16
; WaveLimiterHint : 0
; COMPUTE_PGM_RSRC2:SCRATCH_EN: 0
; COMPUTE_PGM_RSRC2:USER_SGPR: 15
; COMPUTE_PGM_RSRC2:TRAP_HANDLER: 0
; COMPUTE_PGM_RSRC2:TGID_X_EN: 1
; COMPUTE_PGM_RSRC2:TGID_Y_EN: 0
; COMPUTE_PGM_RSRC2:TGID_Z_EN: 0
; COMPUTE_PGM_RSRC2:TIDIG_COMP_CNT: 2
	.section	.text._Z11rank_kernelILj102ELj3ELj3ELb1EL18RadixRankAlgorithm2EtEvPKT4_Pijj,"axG",@progbits,_Z11rank_kernelILj102ELj3ELj3ELb1EL18RadixRankAlgorithm2EtEvPKT4_Pijj,comdat
	.protected	_Z11rank_kernelILj102ELj3ELj3ELb1EL18RadixRankAlgorithm2EtEvPKT4_Pijj ; -- Begin function _Z11rank_kernelILj102ELj3ELj3ELb1EL18RadixRankAlgorithm2EtEvPKT4_Pijj
	.globl	_Z11rank_kernelILj102ELj3ELj3ELb1EL18RadixRankAlgorithm2EtEvPKT4_Pijj
	.p2align	8
	.type	_Z11rank_kernelILj102ELj3ELj3ELb1EL18RadixRankAlgorithm2EtEvPKT4_Pijj,@function
_Z11rank_kernelILj102ELj3ELj3ELb1EL18RadixRankAlgorithm2EtEvPKT4_Pijj: ; @_Z11rank_kernelILj102ELj3ELj3ELb1EL18RadixRankAlgorithm2EtEvPKT4_Pijj
; %bb.0:
	s_clause 0x1
	s_load_b128 s[4:7], s[0:1], 0x0
	s_load_b64 s[10:11], s[0:1], 0x10
	v_and_b32_e32 v1, 0x3ff, v0
	s_mov_b32 s3, 0
	s_mul_i32 s2, s15, 0x132
	v_mbcnt_lo_u32_b32 v4, -1, 0
	s_lshl_b64 s[8:9], s[2:3], 1
	v_mul_u32_u24_e32 v2, 3, v1
	v_lshrrev_b32_e32 v7, 5, v1
	v_and_b32_e32 v8, 0x60, v1
	v_bfe_u32 v15, v0, 10, 10
	v_bfe_u32 v0, v0, 20, 10
	v_lshlrev_b32_e32 v3, 1, v2
	v_mul_u32_u24_e32 v5, 0x60, v7
	v_cmp_eq_u32_e32 vcc_lo, 0x60, v8
	v_cndmask_b32_e64 v6, 32, 6, vcc_lo
	s_waitcnt lgkmcnt(0)
	s_add_u32 s4, s4, s8
	s_addc_u32 s5, s5, s9
	s_clause 0x1
	global_load_b32 v9, v3, s[4:5]
	global_load_u16 v10, v3, s[4:5] offset:4
	v_mad_u32_u24 v3, v4, 3, v5
	s_load_b32 s0, s[0:1], 0x24
	v_or_b32_e32 v5, v4, v5
	s_delay_alu instid0(VALU_DEP_2)
	v_lshlrev_b32_e32 v11, 1, v3
	s_waitcnt vmcnt(1)
	ds_store_b16 v11, v9
	ds_store_b16_d16_hi v11, v9 offset:2
	s_waitcnt vmcnt(0)
	ds_store_b16 v11, v10 offset:4
	v_lshlrev_b32_e32 v12, 1, v5
	; wave barrier
	s_waitcnt lgkmcnt(0)
	s_lshr_b32 s8, s0, 16
	s_and_b32 s9, s0, 0xffff
	ds_load_u16 v9, v12
	s_and_b32 s0, s11, 31
	v_lshlrev_b32_e32 v10, 1, v6
	s_cmp_eq_u32 s0, 0
	v_mad_u32_u24 v0, v0, s8, v15
	s_cselect_b32 s1, -1, 0
	s_and_b32 s4, s10, 31
	s_sub_i32 s5, 32, s0
	s_add_i32 s4, s4, s0
	v_add_nc_u32_e32 v11, v12, v10
	s_sub_i32 s4, 32, s4
	s_delay_alu instid0(VALU_DEP_1)
	v_add_nc_u32_e32 v10, v11, v10
	ds_load_u16 v11, v11
	ds_load_u16 v14, v10
	s_waitcnt lgkmcnt(0)
	v_lshlrev_b32_e32 v9, s4, v9
	s_barrier
	buffer_gl0_inv
	v_bfe_u32 v9, v9, s5, 16
	s_delay_alu instid0(VALU_DEP_1) | instskip(NEXT) | instid1(VALU_DEP_1)
	v_xor_b32_e32 v9, 7, v9
	v_cndmask_b32_e64 v10, v9, 7, s1
	s_delay_alu instid0(VALU_DEP_1) | instskip(SKIP_3) | instid1(VALU_DEP_4)
	v_and_b32_e32 v9, 1, v10
	v_lshlrev_b32_e32 v12, 30, v10
	v_lshlrev_b32_e32 v16, 29, v10
	v_mul_u32_u24_e32 v10, 5, v10
	v_add_co_u32 v9, s0, v9, -1
	s_delay_alu instid0(VALU_DEP_1) | instskip(SKIP_3) | instid1(VALU_DEP_4)
	v_cndmask_b32_e64 v13, 0, 1, s0
	v_not_b32_e32 v17, v12
	v_cmp_gt_i32_e64 s0, 0, v12
	v_not_b32_e32 v12, v16
	v_cmp_ne_u32_e32 vcc_lo, 0, v13
	s_delay_alu instid0(VALU_DEP_4) | instskip(NEXT) | instid1(VALU_DEP_3)
	v_ashrrev_i32_e32 v13, 31, v17
	v_ashrrev_i32_e32 v12, 31, v12
	v_xor_b32_e32 v9, vcc_lo, v9
	v_cmp_gt_i32_e32 vcc_lo, 0, v16
	s_delay_alu instid0(VALU_DEP_4) | instskip(SKIP_1) | instid1(VALU_DEP_4)
	v_xor_b32_e32 v13, s0, v13
	v_mad_u64_u32 v[15:16], null, v0, s9, v[1:2]
	v_and_b32_e32 v9, exec_lo, v9
	v_xor_b32_e32 v0, vcc_lo, v12
	s_delay_alu instid0(VALU_DEP_2) | instskip(SKIP_2) | instid1(VALU_DEP_3)
	v_and_b32_e32 v9, v9, v13
	v_mov_b32_e32 v13, 0
	v_lshrrev_b32_e32 v15, 5, v15
	v_and_b32_e32 v12, v9, v0
	v_lshlrev_b32_e32 v9, 2, v1
	s_delay_alu instid0(VALU_DEP_3) | instskip(NEXT) | instid1(VALU_DEP_3)
	v_add_lshl_u32 v10, v15, v10, 2
	v_mbcnt_lo_u32_b32 v0, v12, 0
	v_cmp_ne_u32_e64 s0, 0, v12
	ds_store_b32 v9, v13 offset:16
	s_waitcnt lgkmcnt(0)
	s_barrier
	v_cmp_eq_u32_e32 vcc_lo, 0, v0
	buffer_gl0_inv
	; wave barrier
	s_and_b32 s8, s0, vcc_lo
	s_delay_alu instid0(SALU_CYCLE_1)
	s_and_saveexec_b32 s0, s8
	s_cbranch_execz .LBB54_2
; %bb.1:
	v_bcnt_u32_b32 v12, v12, 0
	ds_store_b32 v10, v12 offset:16
.LBB54_2:
	s_or_b32 exec_lo, exec_lo, s0
	v_and_b32_e32 v11, 0xffff, v11
	; wave barrier
	s_delay_alu instid0(VALU_DEP_1) | instskip(NEXT) | instid1(VALU_DEP_1)
	v_lshlrev_b32_e32 v11, s4, v11
	v_bfe_u32 v11, v11, s5, 16
	s_delay_alu instid0(VALU_DEP_1) | instskip(NEXT) | instid1(VALU_DEP_1)
	v_xor_b32_e32 v11, 7, v11
	v_cndmask_b32_e64 v11, v11, 7, s1
	s_delay_alu instid0(VALU_DEP_1) | instskip(SKIP_3) | instid1(VALU_DEP_4)
	v_and_b32_e32 v12, 1, v11
	v_lshlrev_b32_e32 v13, 30, v11
	v_lshlrev_b32_e32 v17, 29, v11
	v_mul_u32_u24_e32 v11, 5, v11
	v_add_co_u32 v12, s0, v12, -1
	s_delay_alu instid0(VALU_DEP_1) | instskip(SKIP_3) | instid1(VALU_DEP_4)
	v_cndmask_b32_e64 v16, 0, 1, s0
	v_not_b32_e32 v18, v13
	v_cmp_gt_i32_e64 s0, 0, v13
	v_not_b32_e32 v13, v17
	v_cmp_ne_u32_e32 vcc_lo, 0, v16
	s_delay_alu instid0(VALU_DEP_4) | instskip(SKIP_3) | instid1(VALU_DEP_4)
	v_ashrrev_i32_e32 v16, 31, v18
	v_xor_b32_e32 v12, vcc_lo, v12
	v_cmp_gt_i32_e32 vcc_lo, 0, v17
	v_ashrrev_i32_e32 v17, 31, v13
	v_xor_b32_e32 v16, s0, v16
	v_add_lshl_u32 v13, v15, v11, 2
	v_and_b32_e32 v12, exec_lo, v12
	s_delay_alu instid0(VALU_DEP_4) | instskip(SKIP_2) | instid1(VALU_DEP_1)
	v_xor_b32_e32 v17, vcc_lo, v17
	ds_load_b32 v11, v13 offset:16
	v_and_b32_e32 v12, v12, v16
	; wave barrier
	v_and_b32_e32 v16, v12, v17
	s_delay_alu instid0(VALU_DEP_1) | instskip(SKIP_1) | instid1(VALU_DEP_2)
	v_mbcnt_lo_u32_b32 v12, v16, 0
	v_cmp_ne_u32_e64 s0, 0, v16
	v_cmp_eq_u32_e32 vcc_lo, 0, v12
	s_delay_alu instid0(VALU_DEP_2) | instskip(NEXT) | instid1(SALU_CYCLE_1)
	s_and_b32 s8, s0, vcc_lo
	s_and_saveexec_b32 s0, s8
	s_cbranch_execz .LBB54_4
; %bb.3:
	s_waitcnt lgkmcnt(0)
	v_bcnt_u32_b32 v16, v16, v11
	ds_store_b32 v13, v16 offset:16
.LBB54_4:
	s_or_b32 exec_lo, exec_lo, s0
	v_and_b32_e32 v14, 0xffff, v14
	; wave barrier
	s_delay_alu instid0(VALU_DEP_1) | instskip(NEXT) | instid1(VALU_DEP_1)
	v_lshlrev_b32_e32 v14, s4, v14
	v_bfe_u32 v14, v14, s5, 16
	s_delay_alu instid0(VALU_DEP_1) | instskip(NEXT) | instid1(VALU_DEP_1)
	v_xor_b32_e32 v14, 7, v14
	v_cndmask_b32_e64 v14, v14, 7, s1
	s_delay_alu instid0(VALU_DEP_1) | instskip(SKIP_3) | instid1(VALU_DEP_4)
	v_and_b32_e32 v16, 1, v14
	v_lshlrev_b32_e32 v17, 30, v14
	v_lshlrev_b32_e32 v19, 29, v14
	v_mul_u32_u24_e32 v14, 5, v14
	v_add_co_u32 v16, s0, v16, -1
	s_delay_alu instid0(VALU_DEP_1) | instskip(SKIP_3) | instid1(VALU_DEP_4)
	v_cndmask_b32_e64 v18, 0, 1, s0
	v_not_b32_e32 v20, v17
	v_cmp_gt_i32_e64 s0, 0, v17
	v_not_b32_e32 v17, v19
	v_cmp_ne_u32_e32 vcc_lo, 0, v18
	s_delay_alu instid0(VALU_DEP_4) | instskip(NEXT) | instid1(VALU_DEP_3)
	v_ashrrev_i32_e32 v18, 31, v20
	v_ashrrev_i32_e32 v17, 31, v17
	v_xor_b32_e32 v16, vcc_lo, v16
	v_cmp_gt_i32_e32 vcc_lo, 0, v19
	s_delay_alu instid0(VALU_DEP_4) | instskip(NEXT) | instid1(VALU_DEP_3)
	v_xor_b32_e32 v18, s0, v18
	v_and_b32_e32 v19, exec_lo, v16
	v_add_lshl_u32 v16, v15, v14, 2
	v_xor_b32_e32 v15, vcc_lo, v17
	s_delay_alu instid0(VALU_DEP_3) | instskip(SKIP_2) | instid1(VALU_DEP_1)
	v_and_b32_e32 v17, v19, v18
	ds_load_b32 v14, v16 offset:16
	; wave barrier
	v_and_b32_e32 v17, v17, v15
	v_mbcnt_lo_u32_b32 v15, v17, 0
	v_cmp_ne_u32_e64 s0, 0, v17
	s_delay_alu instid0(VALU_DEP_2) | instskip(NEXT) | instid1(VALU_DEP_2)
	v_cmp_eq_u32_e32 vcc_lo, 0, v15
	s_and_b32 s1, s0, vcc_lo
	s_delay_alu instid0(SALU_CYCLE_1)
	s_and_saveexec_b32 s0, s1
	s_cbranch_execz .LBB54_6
; %bb.5:
	s_waitcnt lgkmcnt(0)
	v_bcnt_u32_b32 v17, v17, v14
	ds_store_b32 v16, v17 offset:16
.LBB54_6:
	s_or_b32 exec_lo, exec_lo, s0
	; wave barrier
	s_waitcnt lgkmcnt(0)
	s_barrier
	buffer_gl0_inv
	ds_load_b32 v17, v9 offset:16
	v_min_u32_e32 v8, 0x46, v8
	s_mov_b32 s0, exec_lo
	s_waitcnt lgkmcnt(0)
	v_mov_b32_dpp v19, v17 row_shr:1 row_mask:0xf bank_mask:0xf
	v_and_b32_e32 v18, 15, v4
	s_delay_alu instid0(VALU_DEP_1) | instskip(NEXT) | instid1(VALU_DEP_3)
	v_cmp_ne_u32_e32 vcc_lo, 0, v18
	v_cndmask_b32_e32 v19, 0, v19, vcc_lo
	v_cmp_lt_u32_e32 vcc_lo, 1, v18
	s_delay_alu instid0(VALU_DEP_2) | instskip(NEXT) | instid1(VALU_DEP_1)
	v_add_nc_u32_e32 v17, v19, v17
	v_mov_b32_dpp v19, v17 row_shr:2 row_mask:0xf bank_mask:0xf
	s_delay_alu instid0(VALU_DEP_1) | instskip(SKIP_1) | instid1(VALU_DEP_2)
	v_cndmask_b32_e32 v19, 0, v19, vcc_lo
	v_cmp_lt_u32_e32 vcc_lo, 3, v18
	v_add_nc_u32_e32 v17, v17, v19
	s_delay_alu instid0(VALU_DEP_1) | instskip(NEXT) | instid1(VALU_DEP_1)
	v_mov_b32_dpp v19, v17 row_shr:4 row_mask:0xf bank_mask:0xf
	v_cndmask_b32_e32 v19, 0, v19, vcc_lo
	v_cmp_lt_u32_e32 vcc_lo, 7, v18
	s_delay_alu instid0(VALU_DEP_2) | instskip(NEXT) | instid1(VALU_DEP_1)
	v_add_nc_u32_e32 v17, v17, v19
	v_mov_b32_dpp v19, v17 row_shr:8 row_mask:0xf bank_mask:0xf
	s_delay_alu instid0(VALU_DEP_1) | instskip(SKIP_1) | instid1(VALU_DEP_2)
	v_cndmask_b32_e32 v18, 0, v19, vcc_lo
	v_bfe_i32 v19, v4, 4, 1
	v_add_nc_u32_e32 v17, v17, v18
	ds_swizzle_b32 v18, v17 offset:swizzle(BROADCAST,32,15)
	s_waitcnt lgkmcnt(0)
	v_and_b32_e32 v18, v19, v18
	v_add_nc_u32_e32 v19, 31, v8
	s_delay_alu instid0(VALU_DEP_2) | instskip(NEXT) | instid1(VALU_DEP_2)
	v_add_nc_u32_e32 v8, v17, v18
	v_cmpx_eq_u32_e64 v19, v1
	s_xor_b32 s0, exec_lo, s0
	s_cbranch_execz .LBB54_8
; %bb.7:
	v_lshlrev_b32_e32 v17, 2, v7
	ds_store_b32 v17, v8
.LBB54_8:
	s_or_b32 exec_lo, exec_lo, s0
	s_delay_alu instid0(SALU_CYCLE_1)
	s_mov_b32 s0, exec_lo
	s_waitcnt lgkmcnt(0)
	s_barrier
	buffer_gl0_inv
	v_cmpx_gt_u32_e32 4, v1
	s_cbranch_execz .LBB54_10
; %bb.9:
	ds_load_b32 v17, v9
	s_waitcnt lgkmcnt(0)
	v_mov_b32_dpp v19, v17 row_shr:1 row_mask:0xf bank_mask:0xf
	v_and_b32_e32 v18, 3, v4
	s_delay_alu instid0(VALU_DEP_1) | instskip(NEXT) | instid1(VALU_DEP_3)
	v_cmp_ne_u32_e32 vcc_lo, 0, v18
	v_cndmask_b32_e32 v19, 0, v19, vcc_lo
	v_cmp_lt_u32_e32 vcc_lo, 1, v18
	s_delay_alu instid0(VALU_DEP_2) | instskip(NEXT) | instid1(VALU_DEP_1)
	v_add_nc_u32_e32 v17, v19, v17
	v_mov_b32_dpp v19, v17 row_shr:2 row_mask:0xf bank_mask:0xf
	s_delay_alu instid0(VALU_DEP_1) | instskip(NEXT) | instid1(VALU_DEP_1)
	v_cndmask_b32_e32 v18, 0, v19, vcc_lo
	v_add_nc_u32_e32 v17, v17, v18
	ds_store_b32 v9, v17
.LBB54_10:
	s_or_b32 exec_lo, exec_lo, s0
	v_cmp_lt_u32_e32 vcc_lo, 31, v1
	v_mov_b32_e32 v1, 0
	s_waitcnt lgkmcnt(0)
	s_barrier
	buffer_gl0_inv
	s_and_saveexec_b32 s0, vcc_lo
	s_cbranch_execz .LBB54_12
; %bb.11:
	v_lshl_add_u32 v1, v7, 2, -4
	ds_load_b32 v1, v1
.LBB54_12:
	s_or_b32 exec_lo, exec_lo, s0
	v_add_nc_u32_e32 v7, -1, v4
	v_lshlrev_b32_e32 v5, 2, v5
	s_lshl_b64 s[0:1], s[2:3], 2
	v_lshlrev_b32_e32 v6, 2, v6
	s_add_u32 s0, s6, s0
	v_cmp_gt_i32_e32 vcc_lo, 0, v7
	s_addc_u32 s1, s7, s1
	v_cndmask_b32_e32 v7, v7, v4, vcc_lo
	v_cmp_eq_u32_e32 vcc_lo, 0, v4
	s_waitcnt lgkmcnt(0)
	v_add_nc_u32_e32 v8, v1, v8
	s_delay_alu instid0(VALU_DEP_3)
	v_lshlrev_b32_e32 v7, 2, v7
	ds_bpermute_b32 v7, v7, v8
	s_waitcnt lgkmcnt(0)
	v_dual_cndmask_b32 v1, v7, v1 :: v_dual_add_nc_u32 v8, v5, v6
	ds_store_b32 v9, v1 offset:16
	s_waitcnt lgkmcnt(0)
	s_barrier
	buffer_gl0_inv
	ds_load_b32 v1, v10 offset:16
	ds_load_b32 v4, v13 offset:16
	;; [unrolled: 1-line block ×3, first 2 shown]
	v_lshlrev_b32_e32 v9, 2, v3
	v_add_nc_u32_e32 v3, v8, v6
	s_waitcnt lgkmcnt(0)
	s_barrier
	buffer_gl0_inv
	v_add_nc_u32_e32 v0, v1, v0
	v_add3_u32 v1, v12, v11, v4
	v_add3_u32 v4, v15, v14, v7
	ds_store_b32 v5, v0
	ds_store_b32 v8, v1
	;; [unrolled: 1-line block ×3, first 2 shown]
	; wave barrier
	ds_load_2addr_b32 v[3:4], v9 offset1:1
	ds_load_b32 v5, v9 offset:8
	v_lshlrev_b32_e32 v0, 2, v2
	s_waitcnt lgkmcnt(0)
	global_store_b96 v0, v[3:5], s[0:1]
	s_nop 0
	s_sendmsg sendmsg(MSG_DEALLOC_VGPRS)
	s_endpgm
	.section	.rodata,"a",@progbits
	.p2align	6, 0x0
	.amdhsa_kernel _Z11rank_kernelILj102ELj3ELj3ELb1EL18RadixRankAlgorithm2EtEvPKT4_Pijj
		.amdhsa_group_segment_fixed_size 1232
		.amdhsa_private_segment_fixed_size 0
		.amdhsa_kernarg_size 280
		.amdhsa_user_sgpr_count 15
		.amdhsa_user_sgpr_dispatch_ptr 0
		.amdhsa_user_sgpr_queue_ptr 0
		.amdhsa_user_sgpr_kernarg_segment_ptr 1
		.amdhsa_user_sgpr_dispatch_id 0
		.amdhsa_user_sgpr_private_segment_size 0
		.amdhsa_wavefront_size32 1
		.amdhsa_uses_dynamic_stack 0
		.amdhsa_enable_private_segment 0
		.amdhsa_system_sgpr_workgroup_id_x 1
		.amdhsa_system_sgpr_workgroup_id_y 0
		.amdhsa_system_sgpr_workgroup_id_z 0
		.amdhsa_system_sgpr_workgroup_info 0
		.amdhsa_system_vgpr_workitem_id 2
		.amdhsa_next_free_vgpr 21
		.amdhsa_next_free_sgpr 16
		.amdhsa_reserve_vcc 1
		.amdhsa_float_round_mode_32 0
		.amdhsa_float_round_mode_16_64 0
		.amdhsa_float_denorm_mode_32 3
		.amdhsa_float_denorm_mode_16_64 3
		.amdhsa_dx10_clamp 1
		.amdhsa_ieee_mode 1
		.amdhsa_fp16_overflow 0
		.amdhsa_workgroup_processor_mode 1
		.amdhsa_memory_ordered 1
		.amdhsa_forward_progress 0
		.amdhsa_shared_vgpr_count 0
		.amdhsa_exception_fp_ieee_invalid_op 0
		.amdhsa_exception_fp_denorm_src 0
		.amdhsa_exception_fp_ieee_div_zero 0
		.amdhsa_exception_fp_ieee_overflow 0
		.amdhsa_exception_fp_ieee_underflow 0
		.amdhsa_exception_fp_ieee_inexact 0
		.amdhsa_exception_int_div_zero 0
	.end_amdhsa_kernel
	.section	.text._Z11rank_kernelILj102ELj3ELj3ELb1EL18RadixRankAlgorithm2EtEvPKT4_Pijj,"axG",@progbits,_Z11rank_kernelILj102ELj3ELj3ELb1EL18RadixRankAlgorithm2EtEvPKT4_Pijj,comdat
.Lfunc_end54:
	.size	_Z11rank_kernelILj102ELj3ELj3ELb1EL18RadixRankAlgorithm2EtEvPKT4_Pijj, .Lfunc_end54-_Z11rank_kernelILj102ELj3ELj3ELb1EL18RadixRankAlgorithm2EtEvPKT4_Pijj
                                        ; -- End function
	.section	.AMDGPU.csdata,"",@progbits
; Kernel info:
; codeLenInByte = 1628
; NumSgprs: 18
; NumVgprs: 21
; ScratchSize: 0
; MemoryBound: 0
; FloatMode: 240
; IeeeMode: 1
; LDSByteSize: 1232 bytes/workgroup (compile time only)
; SGPRBlocks: 2
; VGPRBlocks: 2
; NumSGPRsForWavesPerEU: 18
; NumVGPRsForWavesPerEU: 21
; Occupancy: 16
; WaveLimiterHint : 0
; COMPUTE_PGM_RSRC2:SCRATCH_EN: 0
; COMPUTE_PGM_RSRC2:USER_SGPR: 15
; COMPUTE_PGM_RSRC2:TRAP_HANDLER: 0
; COMPUTE_PGM_RSRC2:TGID_X_EN: 1
; COMPUTE_PGM_RSRC2:TGID_Y_EN: 0
; COMPUTE_PGM_RSRC2:TGID_Z_EN: 0
; COMPUTE_PGM_RSRC2:TIDIG_COMP_CNT: 2
	.section	.text._Z11rank_kernelILj64ELj1ELj5ELb0EL18RadixRankAlgorithm2EyEvPKT4_Pijj,"axG",@progbits,_Z11rank_kernelILj64ELj1ELj5ELb0EL18RadixRankAlgorithm2EyEvPKT4_Pijj,comdat
	.protected	_Z11rank_kernelILj64ELj1ELj5ELb0EL18RadixRankAlgorithm2EyEvPKT4_Pijj ; -- Begin function _Z11rank_kernelILj64ELj1ELj5ELb0EL18RadixRankAlgorithm2EyEvPKT4_Pijj
	.globl	_Z11rank_kernelILj64ELj1ELj5ELb0EL18RadixRankAlgorithm2EyEvPKT4_Pijj
	.p2align	8
	.type	_Z11rank_kernelILj64ELj1ELj5ELb0EL18RadixRankAlgorithm2EyEvPKT4_Pijj,@function
_Z11rank_kernelILj64ELj1ELj5ELb0EL18RadixRankAlgorithm2EyEvPKT4_Pijj: ; @_Z11rank_kernelILj64ELj1ELj5ELb0EL18RadixRankAlgorithm2EyEvPKT4_Pijj
; %bb.0:
	s_clause 0x1
	s_load_b128 s[4:7], s[0:1], 0x0
	s_load_b64 s[8:9], s[0:1], 0x10
	v_and_b32_e32 v1, 0x3ff, v0
	s_mov_b32 s3, 0
	s_lshl_b32 s2, s15, 6
	v_mbcnt_lo_u32_b32 v7, -1, 0
	s_lshl_b64 s[10:11], s[2:3], 3
	v_lshlrev_b32_e32 v6, 3, v1
	v_and_b32_e32 v8, 32, v1
	s_load_b32 s1, s[0:1], 0x24
	v_bfe_u32 v9, v0, 20, 10
	v_mov_b32_e32 v10, 0
	v_bfe_u32 v0, v0, 10, 10
	v_or_b32_e32 v5, v7, v8
	s_delay_alu instid0(VALU_DEP_1)
	v_lshlrev_b32_e32 v4, 3, v5
	s_waitcnt lgkmcnt(0)
	s_add_u32 s4, s4, s10
	s_addc_u32 s5, s5, s11
	global_load_b64 v[2:3], v6, s[4:5]
	s_lshr_b32 s0, s1, 16
	s_delay_alu instid0(SALU_CYCLE_1) | instskip(SKIP_1) | instid1(SALU_CYCLE_1)
	v_mul_u32_u24_e32 v9, s0, v9
	s_and_b32 s0, s9, 63
	s_cmp_eq_u32 s0, 0
	s_waitcnt vmcnt(0)
	ds_store_b64 v4, v[2:3]
	v_mov_b32_e32 v2, 0
	; wave barrier
	ds_load_b64 v[3:4], v4
	s_waitcnt lgkmcnt(0)
	s_barrier
	buffer_gl0_inv
	ds_store_2addr_b32 v6, v10, v10 offset0:2 offset1:3
	s_waitcnt lgkmcnt(0)
	s_barrier
	buffer_gl0_inv
	s_cbranch_scc1 .LBB55_2
; %bb.1:
	s_and_b32 s4, s8, 63
	s_delay_alu instid0(SALU_CYCLE_1) | instskip(SKIP_2) | instid1(SALU_CYCLE_1)
	s_add_i32 s4, s4, s0
	s_sub_i32 s0, 64, s0
	s_sub_i32 s4, 64, s4
	v_lshlrev_b64 v[2:3], s4, v[3:4]
	s_delay_alu instid0(VALU_DEP_1)
	v_lshrrev_b64 v[2:3], s0, v[2:3]
.LBB55_2:
	s_delay_alu instid0(VALU_DEP_1)
	v_and_b32_e32 v3, 1, v2
	v_lshlrev_b32_e32 v4, 30, v2
	v_lshlrev_b32_e32 v11, 29, v2
	;; [unrolled: 1-line block ×3, first 2 shown]
	v_add_nc_u32_e32 v0, v9, v0
	v_add_co_u32 v3, s0, v3, -1
	s_delay_alu instid0(VALU_DEP_1) | instskip(SKIP_3) | instid1(VALU_DEP_4)
	v_cndmask_b32_e64 v10, 0, 1, s0
	v_not_b32_e32 v13, v4
	v_cmp_gt_i32_e64 s0, 0, v4
	v_not_b32_e32 v4, v11
	v_cmp_ne_u32_e32 vcc_lo, 0, v10
	s_delay_alu instid0(VALU_DEP_4) | instskip(SKIP_1) | instid1(VALU_DEP_4)
	v_ashrrev_i32_e32 v13, 31, v13
	v_lshlrev_b32_e32 v10, 27, v2
	v_ashrrev_i32_e32 v4, 31, v4
	; wave barrier
	v_xor_b32_e32 v3, vcc_lo, v3
	v_cmp_gt_i32_e32 vcc_lo, 0, v11
	v_not_b32_e32 v11, v12
	v_xor_b32_e32 v13, s0, v13
	v_cmp_gt_i32_e64 s0, 0, v12
	v_and_b32_e32 v3, exec_lo, v3
	v_not_b32_e32 v12, v10
	v_ashrrev_i32_e32 v11, 31, v11
	v_xor_b32_e32 v4, vcc_lo, v4
	v_cmp_gt_i32_e32 vcc_lo, 0, v10
	v_and_b32_e32 v3, v3, v13
	v_ashrrev_i32_e32 v10, 31, v12
	v_xor_b32_e32 v11, s0, v11
	s_and_b32 s0, s1, 0xffff
	s_delay_alu instid0(VALU_DEP_3) | instskip(NEXT) | instid1(VALU_DEP_3)
	v_and_b32_e32 v3, v3, v4
	v_xor_b32_e32 v4, vcc_lo, v10
	v_mad_u64_u32 v[9:10], null, v0, s0, v[1:2]
	v_lshl_add_u32 v2, v2, 1, v2
	s_delay_alu instid0(VALU_DEP_4) | instskip(NEXT) | instid1(VALU_DEP_1)
	v_and_b32_e32 v3, v3, v11
	v_and_b32_e32 v3, v3, v4
	s_delay_alu instid0(VALU_DEP_4) | instskip(NEXT) | instid1(VALU_DEP_2)
	v_lshrrev_b32_e32 v4, 5, v9
	v_mbcnt_lo_u32_b32 v0, v3, 0
	v_cmp_ne_u32_e64 s0, 0, v3
	s_delay_alu instid0(VALU_DEP_3) | instskip(NEXT) | instid1(VALU_DEP_3)
	v_add_lshl_u32 v4, v2, v4, 2
	v_cmp_eq_u32_e32 vcc_lo, 0, v0
	s_delay_alu instid0(VALU_DEP_3) | instskip(NEXT) | instid1(SALU_CYCLE_1)
	s_and_b32 s1, s0, vcc_lo
	s_and_saveexec_b32 s0, s1
	s_cbranch_execz .LBB55_4
; %bb.3:
	v_bcnt_u32_b32 v2, v3, 0
	ds_store_b32 v4, v2 offset:8
.LBB55_4:
	s_or_b32 exec_lo, exec_lo, s0
	; wave barrier
	s_waitcnt lgkmcnt(0)
	s_barrier
	buffer_gl0_inv
	ds_load_2addr_b32 v[2:3], v6 offset0:2 offset1:3
	v_min_u32_e32 v8, 32, v8
	s_mov_b32 s0, exec_lo
	s_delay_alu instid0(VALU_DEP_1) | instskip(SKIP_2) | instid1(VALU_DEP_1)
	v_or_b32_e32 v11, 31, v8
	s_waitcnt lgkmcnt(0)
	v_add_nc_u32_e32 v3, v3, v2
	v_mov_b32_dpp v10, v3 row_shr:1 row_mask:0xf bank_mask:0xf
	v_and_b32_e32 v9, 15, v7
	s_delay_alu instid0(VALU_DEP_1) | instskip(NEXT) | instid1(VALU_DEP_3)
	v_cmp_ne_u32_e32 vcc_lo, 0, v9
	v_cndmask_b32_e32 v10, 0, v10, vcc_lo
	v_cmp_lt_u32_e32 vcc_lo, 1, v9
	s_delay_alu instid0(VALU_DEP_2) | instskip(NEXT) | instid1(VALU_DEP_1)
	v_add_nc_u32_e32 v3, v10, v3
	v_mov_b32_dpp v10, v3 row_shr:2 row_mask:0xf bank_mask:0xf
	s_delay_alu instid0(VALU_DEP_1) | instskip(SKIP_1) | instid1(VALU_DEP_2)
	v_cndmask_b32_e32 v10, 0, v10, vcc_lo
	v_cmp_lt_u32_e32 vcc_lo, 3, v9
	v_add_nc_u32_e32 v3, v3, v10
	s_delay_alu instid0(VALU_DEP_1) | instskip(NEXT) | instid1(VALU_DEP_1)
	v_mov_b32_dpp v10, v3 row_shr:4 row_mask:0xf bank_mask:0xf
	v_cndmask_b32_e32 v10, 0, v10, vcc_lo
	v_cmp_lt_u32_e32 vcc_lo, 7, v9
	s_delay_alu instid0(VALU_DEP_2) | instskip(NEXT) | instid1(VALU_DEP_1)
	v_add_nc_u32_e32 v3, v3, v10
	v_mov_b32_dpp v10, v3 row_shr:8 row_mask:0xf bank_mask:0xf
	s_delay_alu instid0(VALU_DEP_1) | instskip(SKIP_1) | instid1(VALU_DEP_2)
	v_cndmask_b32_e32 v9, 0, v10, vcc_lo
	v_bfe_i32 v10, v7, 4, 1
	v_add_nc_u32_e32 v3, v3, v9
	ds_swizzle_b32 v9, v3 offset:swizzle(BROADCAST,32,15)
	s_waitcnt lgkmcnt(0)
	v_and_b32_e32 v10, v10, v9
	v_lshrrev_b32_e32 v9, 5, v1
	s_delay_alu instid0(VALU_DEP_2)
	v_add_nc_u32_e32 v8, v3, v10
	v_cmpx_eq_u32_e64 v11, v1
	s_cbranch_execz .LBB55_6
; %bb.5:
	s_delay_alu instid0(VALU_DEP_3)
	v_lshlrev_b32_e32 v3, 2, v9
	ds_store_b32 v3, v8
.LBB55_6:
	s_or_b32 exec_lo, exec_lo, s0
	v_lshlrev_b32_e32 v3, 2, v1
	s_mov_b32 s0, exec_lo
	s_waitcnt lgkmcnt(0)
	s_barrier
	buffer_gl0_inv
	v_cmpx_gt_u32_e32 2, v1
	s_cbranch_execz .LBB55_8
; %bb.7:
	ds_load_b32 v10, v3
	v_bfe_i32 v11, v7, 0, 1
	s_waitcnt lgkmcnt(0)
	v_mov_b32_dpp v12, v10 row_shr:1 row_mask:0xf bank_mask:0xf
	s_delay_alu instid0(VALU_DEP_1) | instskip(NEXT) | instid1(VALU_DEP_1)
	v_and_b32_e32 v11, v11, v12
	v_add_nc_u32_e32 v10, v11, v10
	ds_store_b32 v3, v10
.LBB55_8:
	s_or_b32 exec_lo, exec_lo, s0
	v_mov_b32_e32 v10, 0
	s_mov_b32 s0, exec_lo
	s_waitcnt lgkmcnt(0)
	s_barrier
	buffer_gl0_inv
	v_cmpx_lt_u32_e32 31, v1
	s_cbranch_execz .LBB55_10
; %bb.9:
	v_lshl_add_u32 v9, v9, 2, -4
	ds_load_b32 v10, v9
.LBB55_10:
	s_or_b32 exec_lo, exec_lo, s0
	v_add_nc_u32_e32 v9, -1, v7
	s_lshl_b64 s[0:1], s[2:3], 2
	s_waitcnt lgkmcnt(0)
	v_add_nc_u32_e32 v8, v10, v8
	s_add_u32 s0, s6, s0
	s_addc_u32 s1, s7, s1
	v_cmp_gt_i32_e32 vcc_lo, 0, v9
	v_cndmask_b32_e32 v9, v9, v7, vcc_lo
	v_cmp_eq_u32_e32 vcc_lo, 0, v7
	s_delay_alu instid0(VALU_DEP_2) | instskip(SKIP_4) | instid1(VALU_DEP_2)
	v_lshlrev_b32_e32 v9, 2, v9
	ds_bpermute_b32 v8, v9, v8
	s_waitcnt lgkmcnt(0)
	v_cndmask_b32_e32 v7, v8, v10, vcc_lo
	v_cmp_ne_u32_e32 vcc_lo, 0, v1
	v_cndmask_b32_e32 v1, 0, v7, vcc_lo
	s_delay_alu instid0(VALU_DEP_1)
	v_add_nc_u32_e32 v2, v1, v2
	ds_store_2addr_b32 v6, v1, v2 offset0:2 offset1:3
	v_lshlrev_b32_e32 v2, 2, v5
	s_waitcnt lgkmcnt(0)
	s_barrier
	buffer_gl0_inv
	ds_load_b32 v1, v4 offset:8
	s_waitcnt lgkmcnt(0)
	s_barrier
	buffer_gl0_inv
	v_add_nc_u32_e32 v0, v1, v0
	ds_store_b32 v2, v0
	; wave barrier
	ds_load_b32 v0, v2
	s_waitcnt lgkmcnt(0)
	global_store_b32 v3, v0, s[0:1]
	s_nop 0
	s_sendmsg sendmsg(MSG_DEALLOC_VGPRS)
	s_endpgm
	.section	.rodata,"a",@progbits
	.p2align	6, 0x0
	.amdhsa_kernel _Z11rank_kernelILj64ELj1ELj5ELb0EL18RadixRankAlgorithm2EyEvPKT4_Pijj
		.amdhsa_group_segment_fixed_size 528
		.amdhsa_private_segment_fixed_size 0
		.amdhsa_kernarg_size 280
		.amdhsa_user_sgpr_count 15
		.amdhsa_user_sgpr_dispatch_ptr 0
		.amdhsa_user_sgpr_queue_ptr 0
		.amdhsa_user_sgpr_kernarg_segment_ptr 1
		.amdhsa_user_sgpr_dispatch_id 0
		.amdhsa_user_sgpr_private_segment_size 0
		.amdhsa_wavefront_size32 1
		.amdhsa_uses_dynamic_stack 0
		.amdhsa_enable_private_segment 0
		.amdhsa_system_sgpr_workgroup_id_x 1
		.amdhsa_system_sgpr_workgroup_id_y 0
		.amdhsa_system_sgpr_workgroup_id_z 0
		.amdhsa_system_sgpr_workgroup_info 0
		.amdhsa_system_vgpr_workitem_id 2
		.amdhsa_next_free_vgpr 14
		.amdhsa_next_free_sgpr 16
		.amdhsa_reserve_vcc 1
		.amdhsa_float_round_mode_32 0
		.amdhsa_float_round_mode_16_64 0
		.amdhsa_float_denorm_mode_32 3
		.amdhsa_float_denorm_mode_16_64 3
		.amdhsa_dx10_clamp 1
		.amdhsa_ieee_mode 1
		.amdhsa_fp16_overflow 0
		.amdhsa_workgroup_processor_mode 1
		.amdhsa_memory_ordered 1
		.amdhsa_forward_progress 0
		.amdhsa_shared_vgpr_count 0
		.amdhsa_exception_fp_ieee_invalid_op 0
		.amdhsa_exception_fp_denorm_src 0
		.amdhsa_exception_fp_ieee_div_zero 0
		.amdhsa_exception_fp_ieee_overflow 0
		.amdhsa_exception_fp_ieee_underflow 0
		.amdhsa_exception_fp_ieee_inexact 0
		.amdhsa_exception_int_div_zero 0
	.end_amdhsa_kernel
	.section	.text._Z11rank_kernelILj64ELj1ELj5ELb0EL18RadixRankAlgorithm2EyEvPKT4_Pijj,"axG",@progbits,_Z11rank_kernelILj64ELj1ELj5ELb0EL18RadixRankAlgorithm2EyEvPKT4_Pijj,comdat
.Lfunc_end55:
	.size	_Z11rank_kernelILj64ELj1ELj5ELb0EL18RadixRankAlgorithm2EyEvPKT4_Pijj, .Lfunc_end55-_Z11rank_kernelILj64ELj1ELj5ELb0EL18RadixRankAlgorithm2EyEvPKT4_Pijj
                                        ; -- End function
	.section	.AMDGPU.csdata,"",@progbits
; Kernel info:
; codeLenInByte = 1036
; NumSgprs: 18
; NumVgprs: 14
; ScratchSize: 0
; MemoryBound: 0
; FloatMode: 240
; IeeeMode: 1
; LDSByteSize: 528 bytes/workgroup (compile time only)
; SGPRBlocks: 2
; VGPRBlocks: 1
; NumSGPRsForWavesPerEU: 18
; NumVGPRsForWavesPerEU: 14
; Occupancy: 16
; WaveLimiterHint : 0
; COMPUTE_PGM_RSRC2:SCRATCH_EN: 0
; COMPUTE_PGM_RSRC2:USER_SGPR: 15
; COMPUTE_PGM_RSRC2:TRAP_HANDLER: 0
; COMPUTE_PGM_RSRC2:TGID_X_EN: 1
; COMPUTE_PGM_RSRC2:TGID_Y_EN: 0
; COMPUTE_PGM_RSRC2:TGID_Z_EN: 0
; COMPUTE_PGM_RSRC2:TIDIG_COMP_CNT: 2
	.section	.text._Z11rank_kernelILj234ELj9ELj4ELb0EL18RadixRankAlgorithm2E12hip_bfloat16EvPKT4_Pijj,"axG",@progbits,_Z11rank_kernelILj234ELj9ELj4ELb0EL18RadixRankAlgorithm2E12hip_bfloat16EvPKT4_Pijj,comdat
	.protected	_Z11rank_kernelILj234ELj9ELj4ELb0EL18RadixRankAlgorithm2E12hip_bfloat16EvPKT4_Pijj ; -- Begin function _Z11rank_kernelILj234ELj9ELj4ELb0EL18RadixRankAlgorithm2E12hip_bfloat16EvPKT4_Pijj
	.globl	_Z11rank_kernelILj234ELj9ELj4ELb0EL18RadixRankAlgorithm2E12hip_bfloat16EvPKT4_Pijj
	.p2align	8
	.type	_Z11rank_kernelILj234ELj9ELj4ELb0EL18RadixRankAlgorithm2E12hip_bfloat16EvPKT4_Pijj,@function
_Z11rank_kernelILj234ELj9ELj4ELb0EL18RadixRankAlgorithm2E12hip_bfloat16EvPKT4_Pijj: ; @_Z11rank_kernelILj234ELj9ELj4ELb0EL18RadixRankAlgorithm2E12hip_bfloat16EvPKT4_Pijj
; %bb.0:
	s_clause 0x1
	s_load_b128 s[4:7], s[0:1], 0x0
	s_load_b64 s[10:11], s[0:1], 0x10
	v_and_b32_e32 v1, 0x3ff, v0
	s_mov_b32 s3, 0
	s_mul_i32 s2, s15, 0x83a
	v_mbcnt_lo_u32_b32 v4, -1, 0
	s_lshl_b64 s[8:9], s[2:3], 1
	v_mul_u32_u24_e32 v2, 9, v1
	v_lshrrev_b32_e32 v7, 5, v1
	v_and_b32_e32 v8, 0xe0, v1
	s_delay_alu instid0(VALU_DEP_3) | instskip(NEXT) | instid1(VALU_DEP_2)
	v_lshlrev_b32_e32 v3, 1, v2
	v_cmp_eq_u32_e32 vcc_lo, 0xe0, v8
	v_cndmask_b32_e64 v5, 32, 10, vcc_lo
	s_waitcnt lgkmcnt(0)
	s_add_u32 s4, s4, s8
	s_addc_u32 s5, s5, s9
	s_clause 0x1
	global_load_b128 v[9:12], v3, s[4:5]
	global_load_u16 v13, v3, s[4:5] offset:16
	v_mul_u32_u24_e32 v3, 0x120, v7
	v_lshlrev_b32_e32 v17, 1, v5
	s_load_b32 s0, s[0:1], 0x24
	s_delay_alu instid0(VALU_DEP_2) | instskip(SKIP_1) | instid1(VALU_DEP_2)
	v_or_b32_e32 v6, v4, v3
	v_mad_u32_u24 v3, v4, 9, v3
	v_lshlrev_b32_e32 v14, 1, v6
	s_delay_alu instid0(VALU_DEP_2)
	v_lshlrev_b32_e32 v16, 1, v3
	s_waitcnt vmcnt(1)
	ds_store_b128 v16, v[9:12]
	s_waitcnt vmcnt(0)
	ds_store_b16 v16, v13 offset:16
	; wave barrier
	ds_load_u16 v9, v14
	v_add_nc_u32_e32 v15, v14, v17
	s_waitcnt lgkmcnt(0)
	s_lshr_b32 s8, s0, 16
	s_and_b32 s9, s0, 0xffff
	s_and_b32 s0, s11, 31
	v_add_nc_u32_e32 v18, v15, v17
	s_cmp_eq_u32 s0, 0
	s_cselect_b32 s1, -1, 0
	s_and_b32 s4, s10, 31
	s_delay_alu instid0(VALU_DEP_1) | instskip(SKIP_3) | instid1(VALU_DEP_1)
	v_add_nc_u32_e32 v10, v18, v17
	s_add_i32 s4, s4, s0
	s_sub_i32 s5, 32, s0
	s_sub_i32 s4, 32, s4
	v_add_nc_u32_e32 v12, v10, v17
	v_cmp_lt_i16_e32 vcc_lo, -1, v9
	s_delay_alu instid0(VALU_DEP_2)
	v_add_nc_u32_e32 v13, v12, v17
	ds_load_u16 v11, v15
	ds_load_u16 v14, v18
	;; [unrolled: 1-line block ×5, first 2 shown]
	v_bfe_u32 v12, v0, 10, 10
	v_bfe_u32 v0, v0, 20, 10
	v_cndmask_b32_e64 v10, -1, 0xffff8000, vcc_lo
	s_delay_alu instid0(VALU_DEP_2) | instskip(NEXT) | instid1(VALU_DEP_2)
	v_mad_u32_u24 v0, v0, s8, v12
	v_xor_b32_e32 v9, v10, v9
	v_add_nc_u32_e32 v12, v13, v17
	s_delay_alu instid0(VALU_DEP_2) | instskip(NEXT) | instid1(VALU_DEP_2)
	v_cmp_ne_u16_e32 vcc_lo, 0x7fff, v9
	v_add_nc_u32_e32 v20, v12, v17
	v_cndmask_b32_e32 v9, 0xffff8000, v9, vcc_lo
	s_delay_alu instid0(VALU_DEP_1) | instskip(NEXT) | instid1(VALU_DEP_1)
	v_and_b32_e32 v9, 0xffff, v9
	v_lshlrev_b32_e32 v9, s4, v9
	s_delay_alu instid0(VALU_DEP_1) | instskip(NEXT) | instid1(VALU_DEP_1)
	v_bfe_u32 v9, v9, s5, 16
	v_cndmask_b32_e64 v10, v9, 0, s1
	s_delay_alu instid0(VALU_DEP_1) | instskip(SKIP_2) | instid1(VALU_DEP_3)
	v_and_b32_e32 v9, 1, v10
	v_lshlrev_b32_e32 v15, 30, v10
	v_lshlrev_b32_e32 v13, 29, v10
	v_add_co_u32 v9, s0, v9, -1
	s_delay_alu instid0(VALU_DEP_1) | instskip(NEXT) | instid1(VALU_DEP_4)
	v_cndmask_b32_e64 v16, 0, 1, s0
	v_not_b32_e32 v18, v15
	v_cmp_gt_i32_e64 s0, 0, v15
	v_not_b32_e32 v15, v13
	s_delay_alu instid0(VALU_DEP_4) | instskip(SKIP_2) | instid1(VALU_DEP_4)
	v_cmp_ne_u32_e32 vcc_lo, 0, v16
	v_lshlrev_b32_e32 v16, 28, v10
	v_ashrrev_i32_e32 v18, 31, v18
	v_ashrrev_i32_e32 v15, 31, v15
	v_mul_u32_u24_e32 v10, 9, v10
	v_xor_b32_e32 v9, vcc_lo, v9
	v_cmp_gt_i32_e32 vcc_lo, 0, v13
	v_not_b32_e32 v13, v16
	v_xor_b32_e32 v18, s0, v18
	v_cmp_gt_i32_e64 s0, 0, v16
	v_and_b32_e32 v9, exec_lo, v9
	v_xor_b32_e32 v21, vcc_lo, v15
	v_ashrrev_i32_e32 v13, 31, v13
	v_mad_u64_u32 v[15:16], null, v0, s9, v[1:2]
	s_delay_alu instid0(VALU_DEP_4) | instskip(SKIP_1) | instid1(VALU_DEP_4)
	v_and_b32_e32 v9, v9, v18
	v_add_nc_u32_e32 v0, v20, v17
	v_xor_b32_e32 v13, s0, v13
	ds_load_u16 v27, v12
	ds_load_u16 v22, v20
	;; [unrolled: 1-line block ×3, first 2 shown]
	v_and_b32_e32 v9, v9, v21
	v_lshrrev_b32_e32 v17, 5, v15
	v_mov_b32_e32 v16, 0
	s_waitcnt lgkmcnt(0)
	s_barrier
	v_and_b32_e32 v12, v9, v13
	v_lshlrev_b32_e32 v9, 2, v1
	v_add_lshl_u32 v10, v10, v17, 2
	buffer_gl0_inv
	v_mbcnt_lo_u32_b32 v0, v12, 0
	v_cmp_ne_u32_e64 s0, 0, v12
	ds_store_b32 v9, v16 offset:32
	s_waitcnt lgkmcnt(0)
	s_barrier
	v_cmp_eq_u32_e32 vcc_lo, 0, v0
	buffer_gl0_inv
	; wave barrier
	s_and_b32 s8, vcc_lo, s0
	s_delay_alu instid0(SALU_CYCLE_1)
	s_and_saveexec_b32 s0, s8
	s_cbranch_execz .LBB56_2
; %bb.1:
	v_bcnt_u32_b32 v12, v12, 0
	ds_store_b32 v10, v12 offset:32
.LBB56_2:
	s_or_b32 exec_lo, exec_lo, s0
	v_cmp_lt_i16_e32 vcc_lo, -1, v11
	; wave barrier
	v_cndmask_b32_e64 v12, -1, 0xffff8000, vcc_lo
	s_delay_alu instid0(VALU_DEP_1) | instskip(NEXT) | instid1(VALU_DEP_1)
	v_xor_b32_e32 v11, v12, v11
	v_cmp_ne_u16_e32 vcc_lo, 0x7fff, v11
	v_cndmask_b32_e32 v11, 0xffff8000, v11, vcc_lo
	s_delay_alu instid0(VALU_DEP_1) | instskip(NEXT) | instid1(VALU_DEP_1)
	v_and_b32_e32 v11, 0xffff, v11
	v_lshlrev_b32_e32 v11, s4, v11
	s_delay_alu instid0(VALU_DEP_1) | instskip(NEXT) | instid1(VALU_DEP_1)
	v_bfe_u32 v11, v11, s5, 16
	v_cndmask_b32_e64 v11, v11, 0, s1
	s_delay_alu instid0(VALU_DEP_1) | instskip(SKIP_2) | instid1(VALU_DEP_3)
	v_and_b32_e32 v12, 1, v11
	v_lshlrev_b32_e32 v13, 30, v11
	v_lshlrev_b32_e32 v16, 29, v11
	v_add_co_u32 v12, s0, v12, -1
	s_delay_alu instid0(VALU_DEP_1) | instskip(NEXT) | instid1(VALU_DEP_4)
	v_cndmask_b32_e64 v15, 0, 1, s0
	v_not_b32_e32 v20, v13
	v_cmp_gt_i32_e64 s0, 0, v13
	v_not_b32_e32 v13, v16
	s_delay_alu instid0(VALU_DEP_4) | instskip(SKIP_2) | instid1(VALU_DEP_4)
	v_cmp_ne_u32_e32 vcc_lo, 0, v15
	v_lshlrev_b32_e32 v15, 28, v11
	v_ashrrev_i32_e32 v20, 31, v20
	v_ashrrev_i32_e32 v13, 31, v13
	v_mul_u32_u24_e32 v11, 9, v11
	v_xor_b32_e32 v12, vcc_lo, v12
	v_cmp_gt_i32_e32 vcc_lo, 0, v16
	v_not_b32_e32 v16, v15
	v_xor_b32_e32 v20, s0, v20
	v_cmp_gt_i32_e64 s0, 0, v15
	v_and_b32_e32 v12, exec_lo, v12
	s_delay_alu instid0(VALU_DEP_4) | instskip(SKIP_2) | instid1(VALU_DEP_4)
	v_ashrrev_i32_e32 v15, 31, v16
	v_xor_b32_e32 v16, vcc_lo, v13
	v_add_lshl_u32 v13, v11, v17, 2
	v_and_b32_e32 v12, v12, v20
	s_delay_alu instid0(VALU_DEP_4) | instskip(SKIP_2) | instid1(VALU_DEP_1)
	v_xor_b32_e32 v15, s0, v15
	ds_load_b32 v11, v13 offset:32
	v_and_b32_e32 v12, v12, v16
	; wave barrier
	v_and_b32_e32 v15, v12, v15
	s_delay_alu instid0(VALU_DEP_1) | instskip(SKIP_1) | instid1(VALU_DEP_2)
	v_mbcnt_lo_u32_b32 v12, v15, 0
	v_cmp_ne_u32_e64 s0, 0, v15
	v_cmp_eq_u32_e32 vcc_lo, 0, v12
	s_delay_alu instid0(VALU_DEP_2) | instskip(NEXT) | instid1(SALU_CYCLE_1)
	s_and_b32 s8, vcc_lo, s0
	s_and_saveexec_b32 s0, s8
	s_cbranch_execz .LBB56_4
; %bb.3:
	s_waitcnt lgkmcnt(0)
	v_bcnt_u32_b32 v15, v15, v11
	ds_store_b32 v13, v15 offset:32
.LBB56_4:
	s_or_b32 exec_lo, exec_lo, s0
	v_cmp_lt_i16_e32 vcc_lo, -1, v14
	; wave barrier
	v_cndmask_b32_e64 v15, -1, 0xffff8000, vcc_lo
	s_delay_alu instid0(VALU_DEP_1) | instskip(NEXT) | instid1(VALU_DEP_1)
	v_xor_b32_e32 v14, v15, v14
	v_cmp_ne_u16_e32 vcc_lo, 0x7fff, v14
	v_cndmask_b32_e32 v14, 0xffff8000, v14, vcc_lo
	s_delay_alu instid0(VALU_DEP_1) | instskip(NEXT) | instid1(VALU_DEP_1)
	v_and_b32_e32 v14, 0xffff, v14
	v_lshlrev_b32_e32 v14, s4, v14
	s_delay_alu instid0(VALU_DEP_1) | instskip(NEXT) | instid1(VALU_DEP_1)
	v_bfe_u32 v14, v14, s5, 16
	v_cndmask_b32_e64 v14, v14, 0, s1
	s_delay_alu instid0(VALU_DEP_1) | instskip(SKIP_2) | instid1(VALU_DEP_3)
	v_and_b32_e32 v15, 1, v14
	v_lshlrev_b32_e32 v16, 30, v14
	v_lshlrev_b32_e32 v21, 29, v14
	v_add_co_u32 v15, s0, v15, -1
	s_delay_alu instid0(VALU_DEP_1) | instskip(NEXT) | instid1(VALU_DEP_4)
	v_cndmask_b32_e64 v20, 0, 1, s0
	v_not_b32_e32 v24, v16
	v_cmp_gt_i32_e64 s0, 0, v16
	v_not_b32_e32 v16, v21
	s_delay_alu instid0(VALU_DEP_4) | instskip(SKIP_2) | instid1(VALU_DEP_4)
	v_cmp_ne_u32_e32 vcc_lo, 0, v20
	v_lshlrev_b32_e32 v20, 28, v14
	v_ashrrev_i32_e32 v24, 31, v24
	v_ashrrev_i32_e32 v16, 31, v16
	v_mul_u32_u24_e32 v14, 9, v14
	v_xor_b32_e32 v15, vcc_lo, v15
	v_cmp_gt_i32_e32 vcc_lo, 0, v21
	v_not_b32_e32 v21, v20
	v_xor_b32_e32 v24, s0, v24
	v_cmp_gt_i32_e64 s0, 0, v20
	v_and_b32_e32 v15, exec_lo, v15
	s_delay_alu instid0(VALU_DEP_4) | instskip(SKIP_2) | instid1(VALU_DEP_4)
	v_ashrrev_i32_e32 v20, 31, v21
	v_xor_b32_e32 v21, vcc_lo, v16
	v_add_lshl_u32 v16, v14, v17, 2
	v_and_b32_e32 v15, v15, v24
	s_delay_alu instid0(VALU_DEP_4) | instskip(SKIP_2) | instid1(VALU_DEP_1)
	v_xor_b32_e32 v20, s0, v20
	ds_load_b32 v14, v16 offset:32
	v_and_b32_e32 v15, v15, v21
	; wave barrier
	v_and_b32_e32 v20, v15, v20
	s_delay_alu instid0(VALU_DEP_1) | instskip(SKIP_1) | instid1(VALU_DEP_2)
	v_mbcnt_lo_u32_b32 v15, v20, 0
	v_cmp_ne_u32_e64 s0, 0, v20
	v_cmp_eq_u32_e32 vcc_lo, 0, v15
	s_delay_alu instid0(VALU_DEP_2) | instskip(NEXT) | instid1(SALU_CYCLE_1)
	s_and_b32 s8, vcc_lo, s0
	s_and_saveexec_b32 s0, s8
	s_cbranch_execz .LBB56_6
; %bb.5:
	s_waitcnt lgkmcnt(0)
	v_bcnt_u32_b32 v20, v20, v14
	ds_store_b32 v16, v20 offset:32
.LBB56_6:
	;; [unrolled: 60-line block ×7, first 2 shown]
	s_or_b32 exec_lo, exec_lo, s0
	v_cmp_lt_i16_e32 vcc_lo, -1, v18
	; wave barrier
	v_cndmask_b32_e64 v34, -1, 0xffff8000, vcc_lo
	s_delay_alu instid0(VALU_DEP_1) | instskip(NEXT) | instid1(VALU_DEP_1)
	v_xor_b32_e32 v18, v34, v18
	v_cmp_ne_u16_e32 vcc_lo, 0x7fff, v18
	v_cndmask_b32_e32 v18, 0xffff8000, v18, vcc_lo
	s_delay_alu instid0(VALU_DEP_1) | instskip(NEXT) | instid1(VALU_DEP_1)
	v_and_b32_e32 v18, 0xffff, v18
	v_lshlrev_b32_e32 v18, s4, v18
	s_delay_alu instid0(VALU_DEP_1) | instskip(NEXT) | instid1(VALU_DEP_1)
	v_bfe_u32 v18, v18, s5, 16
	v_cndmask_b32_e64 v18, v18, 0, s1
	s_delay_alu instid0(VALU_DEP_1) | instskip(SKIP_2) | instid1(VALU_DEP_3)
	v_and_b32_e32 v34, 1, v18
	v_lshlrev_b32_e32 v35, 30, v18
	v_lshlrev_b32_e32 v37, 29, v18
	v_add_co_u32 v34, s0, v34, -1
	s_delay_alu instid0(VALU_DEP_1) | instskip(NEXT) | instid1(VALU_DEP_4)
	v_cndmask_b32_e64 v36, 0, 1, s0
	v_not_b32_e32 v38, v35
	v_cmp_gt_i32_e64 s0, 0, v35
	v_not_b32_e32 v35, v37
	s_delay_alu instid0(VALU_DEP_4) | instskip(SKIP_2) | instid1(VALU_DEP_4)
	v_cmp_ne_u32_e32 vcc_lo, 0, v36
	v_lshlrev_b32_e32 v36, 28, v18
	v_ashrrev_i32_e32 v38, 31, v38
	v_ashrrev_i32_e32 v35, 31, v35
	v_mul_u32_u24_e32 v18, 9, v18
	v_xor_b32_e32 v34, vcc_lo, v34
	v_cmp_gt_i32_e32 vcc_lo, 0, v37
	v_not_b32_e32 v37, v36
	v_xor_b32_e32 v38, s0, v38
	v_cmp_gt_i32_e64 s0, 0, v36
	v_and_b32_e32 v34, exec_lo, v34
	v_xor_b32_e32 v35, vcc_lo, v35
	v_ashrrev_i32_e32 v36, 31, v37
	s_delay_alu instid0(VALU_DEP_3) | instskip(SKIP_1) | instid1(VALU_DEP_3)
	v_and_b32_e32 v37, v34, v38
	v_add_lshl_u32 v34, v18, v17, 2
	v_xor_b32_e32 v18, s0, v36
	s_delay_alu instid0(VALU_DEP_3) | instskip(SKIP_2) | instid1(VALU_DEP_1)
	v_and_b32_e32 v35, v37, v35
	ds_load_b32 v17, v34 offset:32
	; wave barrier
	v_and_b32_e32 v35, v35, v18
	v_mbcnt_lo_u32_b32 v18, v35, 0
	v_cmp_ne_u32_e64 s0, 0, v35
	s_delay_alu instid0(VALU_DEP_2) | instskip(NEXT) | instid1(VALU_DEP_2)
	v_cmp_eq_u32_e32 vcc_lo, 0, v18
	s_and_b32 s1, vcc_lo, s0
	s_delay_alu instid0(SALU_CYCLE_1)
	s_and_saveexec_b32 s0, s1
	s_cbranch_execz .LBB56_18
; %bb.17:
	s_waitcnt lgkmcnt(0)
	v_bcnt_u32_b32 v35, v35, v17
	ds_store_b32 v34, v35 offset:32
.LBB56_18:
	s_or_b32 exec_lo, exec_lo, s0
	; wave barrier
	s_waitcnt lgkmcnt(0)
	s_barrier
	buffer_gl0_inv
	ds_load_b32 v35, v9 offset:32
	v_min_u32_e32 v8, 0xca, v8
	s_mov_b32 s0, exec_lo
	s_waitcnt lgkmcnt(0)
	v_mov_b32_dpp v37, v35 row_shr:1 row_mask:0xf bank_mask:0xf
	v_and_b32_e32 v36, 15, v4
	s_delay_alu instid0(VALU_DEP_1) | instskip(NEXT) | instid1(VALU_DEP_3)
	v_cmp_ne_u32_e32 vcc_lo, 0, v36
	v_cndmask_b32_e32 v37, 0, v37, vcc_lo
	v_cmp_lt_u32_e32 vcc_lo, 1, v36
	s_delay_alu instid0(VALU_DEP_2) | instskip(NEXT) | instid1(VALU_DEP_1)
	v_add_nc_u32_e32 v35, v37, v35
	v_mov_b32_dpp v37, v35 row_shr:2 row_mask:0xf bank_mask:0xf
	s_delay_alu instid0(VALU_DEP_1) | instskip(SKIP_1) | instid1(VALU_DEP_2)
	v_cndmask_b32_e32 v37, 0, v37, vcc_lo
	v_cmp_lt_u32_e32 vcc_lo, 3, v36
	v_add_nc_u32_e32 v35, v35, v37
	s_delay_alu instid0(VALU_DEP_1) | instskip(NEXT) | instid1(VALU_DEP_1)
	v_mov_b32_dpp v37, v35 row_shr:4 row_mask:0xf bank_mask:0xf
	v_cndmask_b32_e32 v37, 0, v37, vcc_lo
	v_cmp_lt_u32_e32 vcc_lo, 7, v36
	s_delay_alu instid0(VALU_DEP_2) | instskip(NEXT) | instid1(VALU_DEP_1)
	v_add_nc_u32_e32 v35, v35, v37
	v_mov_b32_dpp v37, v35 row_shr:8 row_mask:0xf bank_mask:0xf
	s_delay_alu instid0(VALU_DEP_1) | instskip(SKIP_1) | instid1(VALU_DEP_2)
	v_cndmask_b32_e32 v36, 0, v37, vcc_lo
	v_bfe_i32 v37, v4, 4, 1
	v_add_nc_u32_e32 v35, v35, v36
	ds_swizzle_b32 v36, v35 offset:swizzle(BROADCAST,32,15)
	s_waitcnt lgkmcnt(0)
	v_and_b32_e32 v36, v37, v36
	v_add_nc_u32_e32 v37, 31, v8
	s_delay_alu instid0(VALU_DEP_2) | instskip(NEXT) | instid1(VALU_DEP_2)
	v_add_nc_u32_e32 v8, v35, v36
	v_cmpx_eq_u32_e64 v37, v1
	s_xor_b32 s0, exec_lo, s0
	s_cbranch_execz .LBB56_20
; %bb.19:
	v_lshlrev_b32_e32 v35, 2, v7
	ds_store_b32 v35, v8
.LBB56_20:
	s_or_b32 exec_lo, exec_lo, s0
	s_delay_alu instid0(SALU_CYCLE_1)
	s_mov_b32 s0, exec_lo
	s_waitcnt lgkmcnt(0)
	s_barrier
	buffer_gl0_inv
	v_cmpx_gt_u32_e32 8, v1
	s_cbranch_execz .LBB56_22
; %bb.21:
	ds_load_b32 v35, v9
	s_waitcnt lgkmcnt(0)
	v_mov_b32_dpp v37, v35 row_shr:1 row_mask:0xf bank_mask:0xf
	v_and_b32_e32 v36, 7, v4
	s_delay_alu instid0(VALU_DEP_1) | instskip(NEXT) | instid1(VALU_DEP_3)
	v_cmp_ne_u32_e32 vcc_lo, 0, v36
	v_cndmask_b32_e32 v37, 0, v37, vcc_lo
	v_cmp_lt_u32_e32 vcc_lo, 1, v36
	s_delay_alu instid0(VALU_DEP_2) | instskip(NEXT) | instid1(VALU_DEP_1)
	v_add_nc_u32_e32 v35, v37, v35
	v_mov_b32_dpp v37, v35 row_shr:2 row_mask:0xf bank_mask:0xf
	s_delay_alu instid0(VALU_DEP_1) | instskip(SKIP_1) | instid1(VALU_DEP_2)
	v_cndmask_b32_e32 v37, 0, v37, vcc_lo
	v_cmp_lt_u32_e32 vcc_lo, 3, v36
	v_add_nc_u32_e32 v35, v35, v37
	s_delay_alu instid0(VALU_DEP_1) | instskip(NEXT) | instid1(VALU_DEP_1)
	v_mov_b32_dpp v37, v35 row_shr:4 row_mask:0xf bank_mask:0xf
	v_cndmask_b32_e32 v36, 0, v37, vcc_lo
	s_delay_alu instid0(VALU_DEP_1)
	v_add_nc_u32_e32 v35, v35, v36
	ds_store_b32 v9, v35
.LBB56_22:
	s_or_b32 exec_lo, exec_lo, s0
	v_cmp_lt_u32_e32 vcc_lo, 31, v1
	v_mov_b32_e32 v1, 0
	s_waitcnt lgkmcnt(0)
	s_barrier
	buffer_gl0_inv
	s_and_saveexec_b32 s0, vcc_lo
	s_cbranch_execz .LBB56_24
; %bb.23:
	v_lshl_add_u32 v1, v7, 2, -4
	ds_load_b32 v1, v1
.LBB56_24:
	s_or_b32 exec_lo, exec_lo, s0
	v_add_nc_u32_e32 v7, -1, v4
	v_lshlrev_b32_e32 v5, 2, v5
	s_lshl_b64 s[0:1], s[2:3], 2
	v_lshlrev_b32_e32 v6, 2, v6
	s_add_u32 s0, s6, s0
	v_cmp_gt_i32_e32 vcc_lo, 0, v7
	s_addc_u32 s1, s7, s1
	v_cndmask_b32_e32 v7, v7, v4, vcc_lo
	v_cmp_eq_u32_e32 vcc_lo, 0, v4
	s_waitcnt lgkmcnt(0)
	v_add_nc_u32_e32 v8, v1, v8
	s_delay_alu instid0(VALU_DEP_3) | instskip(SKIP_2) | instid1(VALU_DEP_1)
	v_lshlrev_b32_e32 v7, 2, v7
	ds_bpermute_b32 v7, v7, v8
	v_add_nc_u32_e32 v8, v6, v5
	v_add_nc_u32_e32 v35, v8, v5
	s_delay_alu instid0(VALU_DEP_1) | instskip(NEXT) | instid1(VALU_DEP_1)
	v_add_nc_u32_e32 v36, v35, v5
	v_add_nc_u32_e32 v37, v36, v5
	s_waitcnt lgkmcnt(0)
	v_cndmask_b32_e32 v1, v7, v1, vcc_lo
	s_delay_alu instid0(VALU_DEP_2)
	v_add_nc_u32_e32 v4, v37, v5
	ds_store_b32 v9, v1 offset:32
	s_waitcnt lgkmcnt(0)
	s_barrier
	buffer_gl0_inv
	ds_load_b32 v1, v10 offset:32
	ds_load_b32 v7, v13 offset:32
	;; [unrolled: 1-line block ×9, first 2 shown]
	v_add_nc_u32_e32 v31, v4, v5
	v_lshlrev_b32_e32 v34, 2, v3
	s_waitcnt lgkmcnt(0)
	s_barrier
	buffer_gl0_inv
	v_add_nc_u32_e32 v33, v31, v5
	s_delay_alu instid0(VALU_DEP_1)
	v_add_nc_u32_e32 v3, v33, v5
	v_add_nc_u32_e32 v0, v1, v0
	v_add3_u32 v1, v12, v11, v7
	v_add3_u32 v5, v15, v14, v9
	;; [unrolled: 1-line block ×8, first 2 shown]
	ds_store_b32 v6, v0
	ds_store_b32 v8, v1
	;; [unrolled: 1-line block ×9, first 2 shown]
	; wave barrier
	ds_load_2addr_b32 v[3:4], v34 offset1:1
	ds_load_2addr_b32 v[5:6], v34 offset0:2 offset1:3
	ds_load_2addr_b32 v[7:8], v34 offset0:4 offset1:5
	;; [unrolled: 1-line block ×3, first 2 shown]
	ds_load_b32 v0, v34 offset:32
	v_lshlrev_b32_e32 v1, 2, v2
	s_waitcnt lgkmcnt(3)
	global_store_b128 v1, v[3:6], s[0:1]
	s_waitcnt lgkmcnt(1)
	global_store_b128 v1, v[7:10], s[0:1] offset:16
	s_waitcnt lgkmcnt(0)
	global_store_b32 v1, v0, s[0:1] offset:32
	s_nop 0
	s_sendmsg sendmsg(MSG_DEALLOC_VGPRS)
	s_endpgm
	.section	.rodata,"a",@progbits
	.p2align	6, 0x0
	.amdhsa_kernel _Z11rank_kernelILj234ELj9ELj4ELb0EL18RadixRankAlgorithm2E12hip_bfloat16EvPKT4_Pijj
		.amdhsa_group_segment_fixed_size 8432
		.amdhsa_private_segment_fixed_size 0
		.amdhsa_kernarg_size 280
		.amdhsa_user_sgpr_count 15
		.amdhsa_user_sgpr_dispatch_ptr 0
		.amdhsa_user_sgpr_queue_ptr 0
		.amdhsa_user_sgpr_kernarg_segment_ptr 1
		.amdhsa_user_sgpr_dispatch_id 0
		.amdhsa_user_sgpr_private_segment_size 0
		.amdhsa_wavefront_size32 1
		.amdhsa_uses_dynamic_stack 0
		.amdhsa_enable_private_segment 0
		.amdhsa_system_sgpr_workgroup_id_x 1
		.amdhsa_system_sgpr_workgroup_id_y 0
		.amdhsa_system_sgpr_workgroup_id_z 0
		.amdhsa_system_sgpr_workgroup_info 0
		.amdhsa_system_vgpr_workitem_id 2
		.amdhsa_next_free_vgpr 39
		.amdhsa_next_free_sgpr 16
		.amdhsa_reserve_vcc 1
		.amdhsa_float_round_mode_32 0
		.amdhsa_float_round_mode_16_64 0
		.amdhsa_float_denorm_mode_32 3
		.amdhsa_float_denorm_mode_16_64 3
		.amdhsa_dx10_clamp 1
		.amdhsa_ieee_mode 1
		.amdhsa_fp16_overflow 0
		.amdhsa_workgroup_processor_mode 1
		.amdhsa_memory_ordered 1
		.amdhsa_forward_progress 0
		.amdhsa_shared_vgpr_count 0
		.amdhsa_exception_fp_ieee_invalid_op 0
		.amdhsa_exception_fp_denorm_src 0
		.amdhsa_exception_fp_ieee_div_zero 0
		.amdhsa_exception_fp_ieee_overflow 0
		.amdhsa_exception_fp_ieee_underflow 0
		.amdhsa_exception_fp_ieee_inexact 0
		.amdhsa_exception_int_div_zero 0
	.end_amdhsa_kernel
	.section	.text._Z11rank_kernelILj234ELj9ELj4ELb0EL18RadixRankAlgorithm2E12hip_bfloat16EvPKT4_Pijj,"axG",@progbits,_Z11rank_kernelILj234ELj9ELj4ELb0EL18RadixRankAlgorithm2E12hip_bfloat16EvPKT4_Pijj,comdat
.Lfunc_end56:
	.size	_Z11rank_kernelILj234ELj9ELj4ELb0EL18RadixRankAlgorithm2E12hip_bfloat16EvPKT4_Pijj, .Lfunc_end56-_Z11rank_kernelILj234ELj9ELj4ELb0EL18RadixRankAlgorithm2E12hip_bfloat16EvPKT4_Pijj
                                        ; -- End function
	.section	.AMDGPU.csdata,"",@progbits
; Kernel info:
; codeLenInByte = 3916
; NumSgprs: 18
; NumVgprs: 39
; ScratchSize: 0
; MemoryBound: 0
; FloatMode: 240
; IeeeMode: 1
; LDSByteSize: 8432 bytes/workgroup (compile time only)
; SGPRBlocks: 2
; VGPRBlocks: 4
; NumSGPRsForWavesPerEU: 18
; NumVGPRsForWavesPerEU: 39
; Occupancy: 16
; WaveLimiterHint : 0
; COMPUTE_PGM_RSRC2:SCRATCH_EN: 0
; COMPUTE_PGM_RSRC2:USER_SGPR: 15
; COMPUTE_PGM_RSRC2:TRAP_HANDLER: 0
; COMPUTE_PGM_RSRC2:TGID_X_EN: 1
; COMPUTE_PGM_RSRC2:TGID_Y_EN: 0
; COMPUTE_PGM_RSRC2:TGID_Z_EN: 0
; COMPUTE_PGM_RSRC2:TIDIG_COMP_CNT: 2
	.section	.text._Z11rank_kernelILj234ELj9ELj4ELb0EL18RadixRankAlgorithm2E6__halfEvPKT4_Pijj,"axG",@progbits,_Z11rank_kernelILj234ELj9ELj4ELb0EL18RadixRankAlgorithm2E6__halfEvPKT4_Pijj,comdat
	.protected	_Z11rank_kernelILj234ELj9ELj4ELb0EL18RadixRankAlgorithm2E6__halfEvPKT4_Pijj ; -- Begin function _Z11rank_kernelILj234ELj9ELj4ELb0EL18RadixRankAlgorithm2E6__halfEvPKT4_Pijj
	.globl	_Z11rank_kernelILj234ELj9ELj4ELb0EL18RadixRankAlgorithm2E6__halfEvPKT4_Pijj
	.p2align	8
	.type	_Z11rank_kernelILj234ELj9ELj4ELb0EL18RadixRankAlgorithm2E6__halfEvPKT4_Pijj,@function
_Z11rank_kernelILj234ELj9ELj4ELb0EL18RadixRankAlgorithm2E6__halfEvPKT4_Pijj: ; @_Z11rank_kernelILj234ELj9ELj4ELb0EL18RadixRankAlgorithm2E6__halfEvPKT4_Pijj
; %bb.0:
	s_clause 0x1
	s_load_b128 s[4:7], s[0:1], 0x0
	s_load_b64 s[10:11], s[0:1], 0x10
	v_and_b32_e32 v1, 0x3ff, v0
	s_mov_b32 s3, 0
	s_mul_i32 s2, s15, 0x83a
	v_mbcnt_lo_u32_b32 v4, -1, 0
	s_lshl_b64 s[8:9], s[2:3], 1
	v_mul_u32_u24_e32 v2, 9, v1
	v_lshrrev_b32_e32 v7, 5, v1
	v_and_b32_e32 v8, 0xe0, v1
	s_delay_alu instid0(VALU_DEP_3) | instskip(NEXT) | instid1(VALU_DEP_2)
	v_lshlrev_b32_e32 v3, 1, v2
	v_cmp_eq_u32_e32 vcc_lo, 0xe0, v8
	v_cndmask_b32_e64 v5, 32, 10, vcc_lo
	s_waitcnt lgkmcnt(0)
	s_add_u32 s4, s4, s8
	s_addc_u32 s5, s5, s9
	s_clause 0x1
	global_load_b128 v[9:12], v3, s[4:5]
	global_load_u16 v13, v3, s[4:5] offset:16
	v_mul_u32_u24_e32 v3, 0x120, v7
	v_lshlrev_b32_e32 v17, 1, v5
	s_load_b32 s0, s[0:1], 0x24
	s_delay_alu instid0(VALU_DEP_2) | instskip(SKIP_1) | instid1(VALU_DEP_2)
	v_or_b32_e32 v6, v4, v3
	v_mad_u32_u24 v3, v4, 9, v3
	v_lshlrev_b32_e32 v14, 1, v6
	s_delay_alu instid0(VALU_DEP_2)
	v_lshlrev_b32_e32 v16, 1, v3
	s_waitcnt vmcnt(1)
	ds_store_b128 v16, v[9:12]
	s_waitcnt vmcnt(0)
	ds_store_b16 v16, v13 offset:16
	; wave barrier
	ds_load_u16 v9, v14
	v_add_nc_u32_e32 v15, v14, v17
	s_waitcnt lgkmcnt(0)
	s_lshr_b32 s8, s0, 16
	s_and_b32 s9, s0, 0xffff
	s_and_b32 s0, s11, 31
	v_add_nc_u32_e32 v18, v15, v17
	s_cmp_eq_u32 s0, 0
	s_cselect_b32 s1, -1, 0
	s_and_b32 s4, s10, 31
	s_delay_alu instid0(VALU_DEP_1) | instskip(SKIP_3) | instid1(VALU_DEP_1)
	v_add_nc_u32_e32 v10, v18, v17
	s_add_i32 s4, s4, s0
	s_sub_i32 s5, 32, s0
	s_sub_i32 s4, 32, s4
	v_add_nc_u32_e32 v12, v10, v17
	v_cmp_lt_i16_e32 vcc_lo, -1, v9
	s_delay_alu instid0(VALU_DEP_2)
	v_add_nc_u32_e32 v13, v12, v17
	ds_load_u16 v11, v15
	ds_load_u16 v14, v18
	ds_load_u16 v19, v10
	ds_load_u16 v23, v12
	ds_load_u16 v26, v13
	v_bfe_u32 v12, v0, 10, 10
	v_bfe_u32 v0, v0, 20, 10
	v_cndmask_b32_e64 v10, -1, 0xffff8000, vcc_lo
	s_delay_alu instid0(VALU_DEP_2) | instskip(NEXT) | instid1(VALU_DEP_2)
	v_mad_u32_u24 v0, v0, s8, v12
	v_xor_b32_e32 v9, v10, v9
	v_add_nc_u32_e32 v12, v13, v17
	s_delay_alu instid0(VALU_DEP_2) | instskip(NEXT) | instid1(VALU_DEP_2)
	v_cmp_ne_u16_e32 vcc_lo, 0x7fff, v9
	v_add_nc_u32_e32 v20, v12, v17
	v_cndmask_b32_e32 v9, 0xffff8000, v9, vcc_lo
	s_delay_alu instid0(VALU_DEP_1) | instskip(NEXT) | instid1(VALU_DEP_1)
	v_and_b32_e32 v9, 0xffff, v9
	v_lshlrev_b32_e32 v9, s4, v9
	s_delay_alu instid0(VALU_DEP_1) | instskip(NEXT) | instid1(VALU_DEP_1)
	v_bfe_u32 v9, v9, s5, 16
	v_cndmask_b32_e64 v10, v9, 0, s1
	s_delay_alu instid0(VALU_DEP_1) | instskip(SKIP_2) | instid1(VALU_DEP_3)
	v_and_b32_e32 v9, 1, v10
	v_lshlrev_b32_e32 v15, 30, v10
	v_lshlrev_b32_e32 v13, 29, v10
	v_add_co_u32 v9, s0, v9, -1
	s_delay_alu instid0(VALU_DEP_1) | instskip(NEXT) | instid1(VALU_DEP_4)
	v_cndmask_b32_e64 v16, 0, 1, s0
	v_not_b32_e32 v18, v15
	v_cmp_gt_i32_e64 s0, 0, v15
	v_not_b32_e32 v15, v13
	s_delay_alu instid0(VALU_DEP_4) | instskip(SKIP_2) | instid1(VALU_DEP_4)
	v_cmp_ne_u32_e32 vcc_lo, 0, v16
	v_lshlrev_b32_e32 v16, 28, v10
	v_ashrrev_i32_e32 v18, 31, v18
	v_ashrrev_i32_e32 v15, 31, v15
	v_mul_u32_u24_e32 v10, 9, v10
	v_xor_b32_e32 v9, vcc_lo, v9
	v_cmp_gt_i32_e32 vcc_lo, 0, v13
	v_not_b32_e32 v13, v16
	v_xor_b32_e32 v18, s0, v18
	v_cmp_gt_i32_e64 s0, 0, v16
	v_and_b32_e32 v9, exec_lo, v9
	v_xor_b32_e32 v21, vcc_lo, v15
	v_ashrrev_i32_e32 v13, 31, v13
	v_mad_u64_u32 v[15:16], null, v0, s9, v[1:2]
	s_delay_alu instid0(VALU_DEP_4) | instskip(SKIP_1) | instid1(VALU_DEP_4)
	v_and_b32_e32 v9, v9, v18
	v_add_nc_u32_e32 v0, v20, v17
	v_xor_b32_e32 v13, s0, v13
	ds_load_u16 v27, v12
	ds_load_u16 v22, v20
	;; [unrolled: 1-line block ×3, first 2 shown]
	v_and_b32_e32 v9, v9, v21
	v_lshrrev_b32_e32 v17, 5, v15
	v_mov_b32_e32 v16, 0
	s_waitcnt lgkmcnt(0)
	s_barrier
	v_and_b32_e32 v12, v9, v13
	v_lshlrev_b32_e32 v9, 2, v1
	v_add_lshl_u32 v10, v10, v17, 2
	buffer_gl0_inv
	v_mbcnt_lo_u32_b32 v0, v12, 0
	v_cmp_ne_u32_e64 s0, 0, v12
	ds_store_b32 v9, v16 offset:32
	s_waitcnt lgkmcnt(0)
	s_barrier
	v_cmp_eq_u32_e32 vcc_lo, 0, v0
	buffer_gl0_inv
	; wave barrier
	s_and_b32 s8, vcc_lo, s0
	s_delay_alu instid0(SALU_CYCLE_1)
	s_and_saveexec_b32 s0, s8
	s_cbranch_execz .LBB57_2
; %bb.1:
	v_bcnt_u32_b32 v12, v12, 0
	ds_store_b32 v10, v12 offset:32
.LBB57_2:
	s_or_b32 exec_lo, exec_lo, s0
	v_cmp_lt_i16_e32 vcc_lo, -1, v11
	; wave barrier
	v_cndmask_b32_e64 v12, -1, 0xffff8000, vcc_lo
	s_delay_alu instid0(VALU_DEP_1) | instskip(NEXT) | instid1(VALU_DEP_1)
	v_xor_b32_e32 v11, v12, v11
	v_cmp_ne_u16_e32 vcc_lo, 0x7fff, v11
	v_cndmask_b32_e32 v11, 0xffff8000, v11, vcc_lo
	s_delay_alu instid0(VALU_DEP_1) | instskip(NEXT) | instid1(VALU_DEP_1)
	v_and_b32_e32 v11, 0xffff, v11
	v_lshlrev_b32_e32 v11, s4, v11
	s_delay_alu instid0(VALU_DEP_1) | instskip(NEXT) | instid1(VALU_DEP_1)
	v_bfe_u32 v11, v11, s5, 16
	v_cndmask_b32_e64 v11, v11, 0, s1
	s_delay_alu instid0(VALU_DEP_1) | instskip(SKIP_2) | instid1(VALU_DEP_3)
	v_and_b32_e32 v12, 1, v11
	v_lshlrev_b32_e32 v13, 30, v11
	v_lshlrev_b32_e32 v16, 29, v11
	v_add_co_u32 v12, s0, v12, -1
	s_delay_alu instid0(VALU_DEP_1) | instskip(NEXT) | instid1(VALU_DEP_4)
	v_cndmask_b32_e64 v15, 0, 1, s0
	v_not_b32_e32 v20, v13
	v_cmp_gt_i32_e64 s0, 0, v13
	v_not_b32_e32 v13, v16
	s_delay_alu instid0(VALU_DEP_4) | instskip(SKIP_2) | instid1(VALU_DEP_4)
	v_cmp_ne_u32_e32 vcc_lo, 0, v15
	v_lshlrev_b32_e32 v15, 28, v11
	v_ashrrev_i32_e32 v20, 31, v20
	v_ashrrev_i32_e32 v13, 31, v13
	v_mul_u32_u24_e32 v11, 9, v11
	v_xor_b32_e32 v12, vcc_lo, v12
	v_cmp_gt_i32_e32 vcc_lo, 0, v16
	v_not_b32_e32 v16, v15
	v_xor_b32_e32 v20, s0, v20
	v_cmp_gt_i32_e64 s0, 0, v15
	v_and_b32_e32 v12, exec_lo, v12
	s_delay_alu instid0(VALU_DEP_4) | instskip(SKIP_2) | instid1(VALU_DEP_4)
	v_ashrrev_i32_e32 v15, 31, v16
	v_xor_b32_e32 v16, vcc_lo, v13
	v_add_lshl_u32 v13, v11, v17, 2
	v_and_b32_e32 v12, v12, v20
	s_delay_alu instid0(VALU_DEP_4) | instskip(SKIP_2) | instid1(VALU_DEP_1)
	v_xor_b32_e32 v15, s0, v15
	ds_load_b32 v11, v13 offset:32
	v_and_b32_e32 v12, v12, v16
	; wave barrier
	v_and_b32_e32 v15, v12, v15
	s_delay_alu instid0(VALU_DEP_1) | instskip(SKIP_1) | instid1(VALU_DEP_2)
	v_mbcnt_lo_u32_b32 v12, v15, 0
	v_cmp_ne_u32_e64 s0, 0, v15
	v_cmp_eq_u32_e32 vcc_lo, 0, v12
	s_delay_alu instid0(VALU_DEP_2) | instskip(NEXT) | instid1(SALU_CYCLE_1)
	s_and_b32 s8, vcc_lo, s0
	s_and_saveexec_b32 s0, s8
	s_cbranch_execz .LBB57_4
; %bb.3:
	s_waitcnt lgkmcnt(0)
	v_bcnt_u32_b32 v15, v15, v11
	ds_store_b32 v13, v15 offset:32
.LBB57_4:
	s_or_b32 exec_lo, exec_lo, s0
	v_cmp_lt_i16_e32 vcc_lo, -1, v14
	; wave barrier
	v_cndmask_b32_e64 v15, -1, 0xffff8000, vcc_lo
	s_delay_alu instid0(VALU_DEP_1) | instskip(NEXT) | instid1(VALU_DEP_1)
	v_xor_b32_e32 v14, v15, v14
	v_cmp_ne_u16_e32 vcc_lo, 0x7fff, v14
	v_cndmask_b32_e32 v14, 0xffff8000, v14, vcc_lo
	s_delay_alu instid0(VALU_DEP_1) | instskip(NEXT) | instid1(VALU_DEP_1)
	v_and_b32_e32 v14, 0xffff, v14
	v_lshlrev_b32_e32 v14, s4, v14
	s_delay_alu instid0(VALU_DEP_1) | instskip(NEXT) | instid1(VALU_DEP_1)
	v_bfe_u32 v14, v14, s5, 16
	v_cndmask_b32_e64 v14, v14, 0, s1
	s_delay_alu instid0(VALU_DEP_1) | instskip(SKIP_2) | instid1(VALU_DEP_3)
	v_and_b32_e32 v15, 1, v14
	v_lshlrev_b32_e32 v16, 30, v14
	v_lshlrev_b32_e32 v21, 29, v14
	v_add_co_u32 v15, s0, v15, -1
	s_delay_alu instid0(VALU_DEP_1) | instskip(NEXT) | instid1(VALU_DEP_4)
	v_cndmask_b32_e64 v20, 0, 1, s0
	v_not_b32_e32 v24, v16
	v_cmp_gt_i32_e64 s0, 0, v16
	v_not_b32_e32 v16, v21
	s_delay_alu instid0(VALU_DEP_4) | instskip(SKIP_2) | instid1(VALU_DEP_4)
	v_cmp_ne_u32_e32 vcc_lo, 0, v20
	v_lshlrev_b32_e32 v20, 28, v14
	v_ashrrev_i32_e32 v24, 31, v24
	v_ashrrev_i32_e32 v16, 31, v16
	v_mul_u32_u24_e32 v14, 9, v14
	v_xor_b32_e32 v15, vcc_lo, v15
	v_cmp_gt_i32_e32 vcc_lo, 0, v21
	v_not_b32_e32 v21, v20
	v_xor_b32_e32 v24, s0, v24
	v_cmp_gt_i32_e64 s0, 0, v20
	v_and_b32_e32 v15, exec_lo, v15
	s_delay_alu instid0(VALU_DEP_4) | instskip(SKIP_2) | instid1(VALU_DEP_4)
	v_ashrrev_i32_e32 v20, 31, v21
	v_xor_b32_e32 v21, vcc_lo, v16
	v_add_lshl_u32 v16, v14, v17, 2
	v_and_b32_e32 v15, v15, v24
	s_delay_alu instid0(VALU_DEP_4) | instskip(SKIP_2) | instid1(VALU_DEP_1)
	v_xor_b32_e32 v20, s0, v20
	ds_load_b32 v14, v16 offset:32
	v_and_b32_e32 v15, v15, v21
	; wave barrier
	v_and_b32_e32 v20, v15, v20
	s_delay_alu instid0(VALU_DEP_1) | instskip(SKIP_1) | instid1(VALU_DEP_2)
	v_mbcnt_lo_u32_b32 v15, v20, 0
	v_cmp_ne_u32_e64 s0, 0, v20
	v_cmp_eq_u32_e32 vcc_lo, 0, v15
	s_delay_alu instid0(VALU_DEP_2) | instskip(NEXT) | instid1(SALU_CYCLE_1)
	s_and_b32 s8, vcc_lo, s0
	s_and_saveexec_b32 s0, s8
	s_cbranch_execz .LBB57_6
; %bb.5:
	s_waitcnt lgkmcnt(0)
	v_bcnt_u32_b32 v20, v20, v14
	ds_store_b32 v16, v20 offset:32
.LBB57_6:
	;; [unrolled: 60-line block ×7, first 2 shown]
	s_or_b32 exec_lo, exec_lo, s0
	v_cmp_lt_i16_e32 vcc_lo, -1, v18
	; wave barrier
	v_cndmask_b32_e64 v34, -1, 0xffff8000, vcc_lo
	s_delay_alu instid0(VALU_DEP_1) | instskip(NEXT) | instid1(VALU_DEP_1)
	v_xor_b32_e32 v18, v34, v18
	v_cmp_ne_u16_e32 vcc_lo, 0x7fff, v18
	v_cndmask_b32_e32 v18, 0xffff8000, v18, vcc_lo
	s_delay_alu instid0(VALU_DEP_1) | instskip(NEXT) | instid1(VALU_DEP_1)
	v_and_b32_e32 v18, 0xffff, v18
	v_lshlrev_b32_e32 v18, s4, v18
	s_delay_alu instid0(VALU_DEP_1) | instskip(NEXT) | instid1(VALU_DEP_1)
	v_bfe_u32 v18, v18, s5, 16
	v_cndmask_b32_e64 v18, v18, 0, s1
	s_delay_alu instid0(VALU_DEP_1) | instskip(SKIP_2) | instid1(VALU_DEP_3)
	v_and_b32_e32 v34, 1, v18
	v_lshlrev_b32_e32 v35, 30, v18
	v_lshlrev_b32_e32 v37, 29, v18
	v_add_co_u32 v34, s0, v34, -1
	s_delay_alu instid0(VALU_DEP_1) | instskip(NEXT) | instid1(VALU_DEP_4)
	v_cndmask_b32_e64 v36, 0, 1, s0
	v_not_b32_e32 v38, v35
	v_cmp_gt_i32_e64 s0, 0, v35
	v_not_b32_e32 v35, v37
	s_delay_alu instid0(VALU_DEP_4) | instskip(SKIP_2) | instid1(VALU_DEP_4)
	v_cmp_ne_u32_e32 vcc_lo, 0, v36
	v_lshlrev_b32_e32 v36, 28, v18
	v_ashrrev_i32_e32 v38, 31, v38
	v_ashrrev_i32_e32 v35, 31, v35
	v_mul_u32_u24_e32 v18, 9, v18
	v_xor_b32_e32 v34, vcc_lo, v34
	v_cmp_gt_i32_e32 vcc_lo, 0, v37
	v_not_b32_e32 v37, v36
	v_xor_b32_e32 v38, s0, v38
	v_cmp_gt_i32_e64 s0, 0, v36
	v_and_b32_e32 v34, exec_lo, v34
	v_xor_b32_e32 v35, vcc_lo, v35
	v_ashrrev_i32_e32 v36, 31, v37
	s_delay_alu instid0(VALU_DEP_3) | instskip(SKIP_1) | instid1(VALU_DEP_3)
	v_and_b32_e32 v37, v34, v38
	v_add_lshl_u32 v34, v18, v17, 2
	v_xor_b32_e32 v18, s0, v36
	s_delay_alu instid0(VALU_DEP_3) | instskip(SKIP_2) | instid1(VALU_DEP_1)
	v_and_b32_e32 v35, v37, v35
	ds_load_b32 v17, v34 offset:32
	; wave barrier
	v_and_b32_e32 v35, v35, v18
	v_mbcnt_lo_u32_b32 v18, v35, 0
	v_cmp_ne_u32_e64 s0, 0, v35
	s_delay_alu instid0(VALU_DEP_2) | instskip(NEXT) | instid1(VALU_DEP_2)
	v_cmp_eq_u32_e32 vcc_lo, 0, v18
	s_and_b32 s1, vcc_lo, s0
	s_delay_alu instid0(SALU_CYCLE_1)
	s_and_saveexec_b32 s0, s1
	s_cbranch_execz .LBB57_18
; %bb.17:
	s_waitcnt lgkmcnt(0)
	v_bcnt_u32_b32 v35, v35, v17
	ds_store_b32 v34, v35 offset:32
.LBB57_18:
	s_or_b32 exec_lo, exec_lo, s0
	; wave barrier
	s_waitcnt lgkmcnt(0)
	s_barrier
	buffer_gl0_inv
	ds_load_b32 v35, v9 offset:32
	v_min_u32_e32 v8, 0xca, v8
	s_mov_b32 s0, exec_lo
	s_waitcnt lgkmcnt(0)
	v_mov_b32_dpp v37, v35 row_shr:1 row_mask:0xf bank_mask:0xf
	v_and_b32_e32 v36, 15, v4
	s_delay_alu instid0(VALU_DEP_1) | instskip(NEXT) | instid1(VALU_DEP_3)
	v_cmp_ne_u32_e32 vcc_lo, 0, v36
	v_cndmask_b32_e32 v37, 0, v37, vcc_lo
	v_cmp_lt_u32_e32 vcc_lo, 1, v36
	s_delay_alu instid0(VALU_DEP_2) | instskip(NEXT) | instid1(VALU_DEP_1)
	v_add_nc_u32_e32 v35, v37, v35
	v_mov_b32_dpp v37, v35 row_shr:2 row_mask:0xf bank_mask:0xf
	s_delay_alu instid0(VALU_DEP_1) | instskip(SKIP_1) | instid1(VALU_DEP_2)
	v_cndmask_b32_e32 v37, 0, v37, vcc_lo
	v_cmp_lt_u32_e32 vcc_lo, 3, v36
	v_add_nc_u32_e32 v35, v35, v37
	s_delay_alu instid0(VALU_DEP_1) | instskip(NEXT) | instid1(VALU_DEP_1)
	v_mov_b32_dpp v37, v35 row_shr:4 row_mask:0xf bank_mask:0xf
	v_cndmask_b32_e32 v37, 0, v37, vcc_lo
	v_cmp_lt_u32_e32 vcc_lo, 7, v36
	s_delay_alu instid0(VALU_DEP_2) | instskip(NEXT) | instid1(VALU_DEP_1)
	v_add_nc_u32_e32 v35, v35, v37
	v_mov_b32_dpp v37, v35 row_shr:8 row_mask:0xf bank_mask:0xf
	s_delay_alu instid0(VALU_DEP_1) | instskip(SKIP_1) | instid1(VALU_DEP_2)
	v_cndmask_b32_e32 v36, 0, v37, vcc_lo
	v_bfe_i32 v37, v4, 4, 1
	v_add_nc_u32_e32 v35, v35, v36
	ds_swizzle_b32 v36, v35 offset:swizzle(BROADCAST,32,15)
	s_waitcnt lgkmcnt(0)
	v_and_b32_e32 v36, v37, v36
	v_add_nc_u32_e32 v37, 31, v8
	s_delay_alu instid0(VALU_DEP_2) | instskip(NEXT) | instid1(VALU_DEP_2)
	v_add_nc_u32_e32 v8, v35, v36
	v_cmpx_eq_u32_e64 v37, v1
	s_xor_b32 s0, exec_lo, s0
	s_cbranch_execz .LBB57_20
; %bb.19:
	v_lshlrev_b32_e32 v35, 2, v7
	ds_store_b32 v35, v8
.LBB57_20:
	s_or_b32 exec_lo, exec_lo, s0
	s_delay_alu instid0(SALU_CYCLE_1)
	s_mov_b32 s0, exec_lo
	s_waitcnt lgkmcnt(0)
	s_barrier
	buffer_gl0_inv
	v_cmpx_gt_u32_e32 8, v1
	s_cbranch_execz .LBB57_22
; %bb.21:
	ds_load_b32 v35, v9
	s_waitcnt lgkmcnt(0)
	v_mov_b32_dpp v37, v35 row_shr:1 row_mask:0xf bank_mask:0xf
	v_and_b32_e32 v36, 7, v4
	s_delay_alu instid0(VALU_DEP_1) | instskip(NEXT) | instid1(VALU_DEP_3)
	v_cmp_ne_u32_e32 vcc_lo, 0, v36
	v_cndmask_b32_e32 v37, 0, v37, vcc_lo
	v_cmp_lt_u32_e32 vcc_lo, 1, v36
	s_delay_alu instid0(VALU_DEP_2) | instskip(NEXT) | instid1(VALU_DEP_1)
	v_add_nc_u32_e32 v35, v37, v35
	v_mov_b32_dpp v37, v35 row_shr:2 row_mask:0xf bank_mask:0xf
	s_delay_alu instid0(VALU_DEP_1) | instskip(SKIP_1) | instid1(VALU_DEP_2)
	v_cndmask_b32_e32 v37, 0, v37, vcc_lo
	v_cmp_lt_u32_e32 vcc_lo, 3, v36
	v_add_nc_u32_e32 v35, v35, v37
	s_delay_alu instid0(VALU_DEP_1) | instskip(NEXT) | instid1(VALU_DEP_1)
	v_mov_b32_dpp v37, v35 row_shr:4 row_mask:0xf bank_mask:0xf
	v_cndmask_b32_e32 v36, 0, v37, vcc_lo
	s_delay_alu instid0(VALU_DEP_1)
	v_add_nc_u32_e32 v35, v35, v36
	ds_store_b32 v9, v35
.LBB57_22:
	s_or_b32 exec_lo, exec_lo, s0
	v_cmp_lt_u32_e32 vcc_lo, 31, v1
	v_mov_b32_e32 v1, 0
	s_waitcnt lgkmcnt(0)
	s_barrier
	buffer_gl0_inv
	s_and_saveexec_b32 s0, vcc_lo
	s_cbranch_execz .LBB57_24
; %bb.23:
	v_lshl_add_u32 v1, v7, 2, -4
	ds_load_b32 v1, v1
.LBB57_24:
	s_or_b32 exec_lo, exec_lo, s0
	v_add_nc_u32_e32 v7, -1, v4
	v_lshlrev_b32_e32 v5, 2, v5
	s_lshl_b64 s[0:1], s[2:3], 2
	v_lshlrev_b32_e32 v6, 2, v6
	s_add_u32 s0, s6, s0
	v_cmp_gt_i32_e32 vcc_lo, 0, v7
	s_addc_u32 s1, s7, s1
	v_cndmask_b32_e32 v7, v7, v4, vcc_lo
	v_cmp_eq_u32_e32 vcc_lo, 0, v4
	s_waitcnt lgkmcnt(0)
	v_add_nc_u32_e32 v8, v1, v8
	s_delay_alu instid0(VALU_DEP_3) | instskip(SKIP_2) | instid1(VALU_DEP_1)
	v_lshlrev_b32_e32 v7, 2, v7
	ds_bpermute_b32 v7, v7, v8
	v_add_nc_u32_e32 v8, v6, v5
	v_add_nc_u32_e32 v35, v8, v5
	s_delay_alu instid0(VALU_DEP_1) | instskip(NEXT) | instid1(VALU_DEP_1)
	v_add_nc_u32_e32 v36, v35, v5
	v_add_nc_u32_e32 v37, v36, v5
	s_waitcnt lgkmcnt(0)
	v_cndmask_b32_e32 v1, v7, v1, vcc_lo
	s_delay_alu instid0(VALU_DEP_2)
	v_add_nc_u32_e32 v4, v37, v5
	ds_store_b32 v9, v1 offset:32
	s_waitcnt lgkmcnt(0)
	s_barrier
	buffer_gl0_inv
	ds_load_b32 v1, v10 offset:32
	ds_load_b32 v7, v13 offset:32
	;; [unrolled: 1-line block ×9, first 2 shown]
	v_add_nc_u32_e32 v31, v4, v5
	v_lshlrev_b32_e32 v34, 2, v3
	s_waitcnt lgkmcnt(0)
	s_barrier
	buffer_gl0_inv
	v_add_nc_u32_e32 v33, v31, v5
	s_delay_alu instid0(VALU_DEP_1)
	v_add_nc_u32_e32 v3, v33, v5
	v_add_nc_u32_e32 v0, v1, v0
	v_add3_u32 v1, v12, v11, v7
	v_add3_u32 v5, v15, v14, v9
	;; [unrolled: 1-line block ×8, first 2 shown]
	ds_store_b32 v6, v0
	ds_store_b32 v8, v1
	;; [unrolled: 1-line block ×9, first 2 shown]
	; wave barrier
	ds_load_2addr_b32 v[3:4], v34 offset1:1
	ds_load_2addr_b32 v[5:6], v34 offset0:2 offset1:3
	ds_load_2addr_b32 v[7:8], v34 offset0:4 offset1:5
	;; [unrolled: 1-line block ×3, first 2 shown]
	ds_load_b32 v0, v34 offset:32
	v_lshlrev_b32_e32 v1, 2, v2
	s_waitcnt lgkmcnt(3)
	global_store_b128 v1, v[3:6], s[0:1]
	s_waitcnt lgkmcnt(1)
	global_store_b128 v1, v[7:10], s[0:1] offset:16
	s_waitcnt lgkmcnt(0)
	global_store_b32 v1, v0, s[0:1] offset:32
	s_nop 0
	s_sendmsg sendmsg(MSG_DEALLOC_VGPRS)
	s_endpgm
	.section	.rodata,"a",@progbits
	.p2align	6, 0x0
	.amdhsa_kernel _Z11rank_kernelILj234ELj9ELj4ELb0EL18RadixRankAlgorithm2E6__halfEvPKT4_Pijj
		.amdhsa_group_segment_fixed_size 8432
		.amdhsa_private_segment_fixed_size 0
		.amdhsa_kernarg_size 280
		.amdhsa_user_sgpr_count 15
		.amdhsa_user_sgpr_dispatch_ptr 0
		.amdhsa_user_sgpr_queue_ptr 0
		.amdhsa_user_sgpr_kernarg_segment_ptr 1
		.amdhsa_user_sgpr_dispatch_id 0
		.amdhsa_user_sgpr_private_segment_size 0
		.amdhsa_wavefront_size32 1
		.amdhsa_uses_dynamic_stack 0
		.amdhsa_enable_private_segment 0
		.amdhsa_system_sgpr_workgroup_id_x 1
		.amdhsa_system_sgpr_workgroup_id_y 0
		.amdhsa_system_sgpr_workgroup_id_z 0
		.amdhsa_system_sgpr_workgroup_info 0
		.amdhsa_system_vgpr_workitem_id 2
		.amdhsa_next_free_vgpr 39
		.amdhsa_next_free_sgpr 16
		.amdhsa_reserve_vcc 1
		.amdhsa_float_round_mode_32 0
		.amdhsa_float_round_mode_16_64 0
		.amdhsa_float_denorm_mode_32 3
		.amdhsa_float_denorm_mode_16_64 3
		.amdhsa_dx10_clamp 1
		.amdhsa_ieee_mode 1
		.amdhsa_fp16_overflow 0
		.amdhsa_workgroup_processor_mode 1
		.amdhsa_memory_ordered 1
		.amdhsa_forward_progress 0
		.amdhsa_shared_vgpr_count 0
		.amdhsa_exception_fp_ieee_invalid_op 0
		.amdhsa_exception_fp_denorm_src 0
		.amdhsa_exception_fp_ieee_div_zero 0
		.amdhsa_exception_fp_ieee_overflow 0
		.amdhsa_exception_fp_ieee_underflow 0
		.amdhsa_exception_fp_ieee_inexact 0
		.amdhsa_exception_int_div_zero 0
	.end_amdhsa_kernel
	.section	.text._Z11rank_kernelILj234ELj9ELj4ELb0EL18RadixRankAlgorithm2E6__halfEvPKT4_Pijj,"axG",@progbits,_Z11rank_kernelILj234ELj9ELj4ELb0EL18RadixRankAlgorithm2E6__halfEvPKT4_Pijj,comdat
.Lfunc_end57:
	.size	_Z11rank_kernelILj234ELj9ELj4ELb0EL18RadixRankAlgorithm2E6__halfEvPKT4_Pijj, .Lfunc_end57-_Z11rank_kernelILj234ELj9ELj4ELb0EL18RadixRankAlgorithm2E6__halfEvPKT4_Pijj
                                        ; -- End function
	.section	.AMDGPU.csdata,"",@progbits
; Kernel info:
; codeLenInByte = 3916
; NumSgprs: 18
; NumVgprs: 39
; ScratchSize: 0
; MemoryBound: 0
; FloatMode: 240
; IeeeMode: 1
; LDSByteSize: 8432 bytes/workgroup (compile time only)
; SGPRBlocks: 2
; VGPRBlocks: 4
; NumSGPRsForWavesPerEU: 18
; NumVGPRsForWavesPerEU: 39
; Occupancy: 16
; WaveLimiterHint : 0
; COMPUTE_PGM_RSRC2:SCRATCH_EN: 0
; COMPUTE_PGM_RSRC2:USER_SGPR: 15
; COMPUTE_PGM_RSRC2:TRAP_HANDLER: 0
; COMPUTE_PGM_RSRC2:TGID_X_EN: 1
; COMPUTE_PGM_RSRC2:TGID_Y_EN: 0
; COMPUTE_PGM_RSRC2:TGID_Z_EN: 0
; COMPUTE_PGM_RSRC2:TIDIG_COMP_CNT: 2
	.section	.text._Z11rank_kernelILj100ELj3ELj4ELb0EL18RadixRankAlgorithm2EtEvPKT4_Pijj,"axG",@progbits,_Z11rank_kernelILj100ELj3ELj4ELb0EL18RadixRankAlgorithm2EtEvPKT4_Pijj,comdat
	.protected	_Z11rank_kernelILj100ELj3ELj4ELb0EL18RadixRankAlgorithm2EtEvPKT4_Pijj ; -- Begin function _Z11rank_kernelILj100ELj3ELj4ELb0EL18RadixRankAlgorithm2EtEvPKT4_Pijj
	.globl	_Z11rank_kernelILj100ELj3ELj4ELb0EL18RadixRankAlgorithm2EtEvPKT4_Pijj
	.p2align	8
	.type	_Z11rank_kernelILj100ELj3ELj4ELb0EL18RadixRankAlgorithm2EtEvPKT4_Pijj,@function
_Z11rank_kernelILj100ELj3ELj4ELb0EL18RadixRankAlgorithm2EtEvPKT4_Pijj: ; @_Z11rank_kernelILj100ELj3ELj4ELb0EL18RadixRankAlgorithm2EtEvPKT4_Pijj
; %bb.0:
	s_clause 0x1
	s_load_b128 s[4:7], s[0:1], 0x0
	s_load_b64 s[10:11], s[0:1], 0x10
	v_and_b32_e32 v1, 0x3ff, v0
	s_mov_b32 s3, 0
	s_mul_i32 s2, s15, 0x12c
	v_mbcnt_lo_u32_b32 v4, -1, 0
	s_lshl_b64 s[8:9], s[2:3], 1
	v_mul_u32_u24_e32 v2, 3, v1
	v_lshrrev_b32_e32 v8, 5, v1
	v_and_b32_e32 v9, 0x60, v1
	v_bfe_u32 v16, v0, 10, 10
	v_bfe_u32 v0, v0, 20, 10
	v_lshlrev_b32_e32 v3, 1, v2
	v_mul_u32_u24_e32 v5, 0x60, v8
	v_cmp_eq_u32_e32 vcc_lo, 0x60, v9
	v_cndmask_b32_e64 v11, 5, 2, vcc_lo
	s_waitcnt lgkmcnt(0)
	s_add_u32 s4, s4, s8
	s_addc_u32 s5, s5, s9
	s_clause 0x1
	global_load_b32 v6, v3, s[4:5]
	global_load_u16 v7, v3, s[4:5] offset:4
	v_mad_u32_u24 v3, v4, 3, v5
	v_or_b32_e32 v5, v4, v5
	s_load_b32 s0, s[0:1], 0x24
	s_and_b32 s5, s11, 31
	s_delay_alu instid0(VALU_DEP_2) | instskip(NEXT) | instid1(VALU_DEP_2)
	v_lshlrev_b32_e32 v10, 1, v3
	v_lshlrev_b32_e32 v12, 1, v5
	s_waitcnt vmcnt(1)
	ds_store_b16 v10, v6
	ds_store_b16_d16_hi v10, v6 offset:2
	s_waitcnt vmcnt(0)
	ds_store_b16 v10, v7 offset:4
	; wave barrier
	ds_load_u16 v10, v12
	s_waitcnt lgkmcnt(0)
	s_lshr_b32 s8, s0, 16
	s_and_b32 s9, s0, 0xffff
	s_cmp_eq_u32 s5, 0
	v_lshlrev_b32_e64 v6, v11, 1
	s_cselect_b32 s1, -1, 0
	s_and_b32 s0, s10, 31
	v_lshlrev_b32_e64 v7, v11, 2
	s_add_i32 s0, s0, s5
	s_sub_i32 s5, 32, s5
	s_sub_i32 s4, 32, s0
	v_lshl_add_u32 v11, v6, 1, v12
	v_lshl_add_u32 v13, v7, 1, v12
	ds_load_u16 v12, v11
	ds_load_u16 v15, v13
	v_mad_u32_u24 v0, v0, s8, v16
	s_waitcnt lgkmcnt(0)
	s_barrier
	v_lshlrev_b32_e32 v10, s4, v10
	buffer_gl0_inv
	v_bfe_u32 v10, v10, s5, 16
	s_delay_alu instid0(VALU_DEP_1) | instskip(NEXT) | instid1(VALU_DEP_1)
	v_cndmask_b32_e64 v11, v10, 0, s1
	v_and_b32_e32 v10, 1, v11
	v_lshlrev_b32_e32 v13, 30, v11
	v_lshlrev_b32_e32 v17, 29, v11
	s_delay_alu instid0(VALU_DEP_3) | instskip(NEXT) | instid1(VALU_DEP_1)
	v_add_co_u32 v10, s0, v10, -1
	v_cndmask_b32_e64 v14, 0, 1, s0
	s_delay_alu instid0(VALU_DEP_4) | instskip(SKIP_2) | instid1(VALU_DEP_4)
	v_not_b32_e32 v18, v13
	v_cmp_gt_i32_e64 s0, 0, v13
	v_not_b32_e32 v13, v17
	v_cmp_ne_u32_e32 vcc_lo, 0, v14
	v_lshlrev_b32_e32 v14, 28, v11
	v_ashrrev_i32_e32 v18, 31, v18
	s_delay_alu instid0(VALU_DEP_4)
	v_ashrrev_i32_e32 v13, 31, v13
	v_mul_u32_u24_e32 v11, 5, v11
	v_xor_b32_e32 v10, vcc_lo, v10
	v_cmp_gt_i32_e32 vcc_lo, 0, v17
	v_not_b32_e32 v17, v14
	v_xor_b32_e32 v18, s0, v18
	v_cmp_gt_i32_e64 s0, 0, v14
	v_and_b32_e32 v10, exec_lo, v10
	v_xor_b32_e32 v13, vcc_lo, v13
	v_ashrrev_i32_e32 v14, 31, v17
	v_mad_u64_u32 v[16:17], null, v0, s9, v[1:2]
	s_delay_alu instid0(VALU_DEP_4) | instskip(NEXT) | instid1(VALU_DEP_3)
	v_and_b32_e32 v10, v10, v18
	v_xor_b32_e32 v0, s0, v14
	v_mov_b32_e32 v14, 0
	s_delay_alu instid0(VALU_DEP_3) | instskip(SKIP_1) | instid1(VALU_DEP_2)
	v_and_b32_e32 v10, v10, v13
	v_lshrrev_b32_e32 v16, 5, v16
	v_and_b32_e32 v13, v10, v0
	v_lshlrev_b32_e32 v10, 2, v1
	s_delay_alu instid0(VALU_DEP_3) | instskip(NEXT) | instid1(VALU_DEP_3)
	v_add_lshl_u32 v11, v16, v11, 2
	v_mbcnt_lo_u32_b32 v0, v13, 0
	v_cmp_ne_u32_e64 s0, 0, v13
	ds_store_b32 v10, v14 offset:16
	s_waitcnt lgkmcnt(0)
	s_barrier
	v_cmp_eq_u32_e32 vcc_lo, 0, v0
	buffer_gl0_inv
	; wave barrier
	s_and_b32 s8, s0, vcc_lo
	s_delay_alu instid0(SALU_CYCLE_1)
	s_and_saveexec_b32 s0, s8
	s_cbranch_execz .LBB58_2
; %bb.1:
	v_bcnt_u32_b32 v13, v13, 0
	ds_store_b32 v11, v13 offset:16
.LBB58_2:
	s_or_b32 exec_lo, exec_lo, s0
	v_and_b32_e32 v12, 0xffff, v12
	; wave barrier
	s_delay_alu instid0(VALU_DEP_1) | instskip(NEXT) | instid1(VALU_DEP_1)
	v_lshlrev_b32_e32 v12, s4, v12
	v_bfe_u32 v12, v12, s5, 16
	s_delay_alu instid0(VALU_DEP_1) | instskip(NEXT) | instid1(VALU_DEP_1)
	v_cndmask_b32_e64 v12, v12, 0, s1
	v_and_b32_e32 v13, 1, v12
	v_lshlrev_b32_e32 v14, 30, v12
	v_lshlrev_b32_e32 v18, 29, v12
	s_delay_alu instid0(VALU_DEP_3) | instskip(NEXT) | instid1(VALU_DEP_1)
	v_add_co_u32 v13, s0, v13, -1
	v_cndmask_b32_e64 v17, 0, 1, s0
	s_delay_alu instid0(VALU_DEP_4) | instskip(SKIP_2) | instid1(VALU_DEP_4)
	v_not_b32_e32 v19, v14
	v_cmp_gt_i32_e64 s0, 0, v14
	v_not_b32_e32 v14, v18
	v_cmp_ne_u32_e32 vcc_lo, 0, v17
	v_lshlrev_b32_e32 v17, 28, v12
	v_ashrrev_i32_e32 v19, 31, v19
	s_delay_alu instid0(VALU_DEP_4)
	v_ashrrev_i32_e32 v14, 31, v14
	v_mul_u32_u24_e32 v12, 5, v12
	v_xor_b32_e32 v13, vcc_lo, v13
	v_cmp_gt_i32_e32 vcc_lo, 0, v18
	v_not_b32_e32 v18, v17
	v_xor_b32_e32 v19, s0, v19
	v_cmp_gt_i32_e64 s0, 0, v17
	v_and_b32_e32 v13, exec_lo, v13
	s_delay_alu instid0(VALU_DEP_4) | instskip(SKIP_2) | instid1(VALU_DEP_4)
	v_ashrrev_i32_e32 v17, 31, v18
	v_xor_b32_e32 v18, vcc_lo, v14
	v_add_lshl_u32 v14, v16, v12, 2
	v_and_b32_e32 v13, v13, v19
	s_delay_alu instid0(VALU_DEP_4) | instskip(SKIP_2) | instid1(VALU_DEP_1)
	v_xor_b32_e32 v17, s0, v17
	ds_load_b32 v12, v14 offset:16
	v_and_b32_e32 v13, v13, v18
	; wave barrier
	v_and_b32_e32 v17, v13, v17
	s_delay_alu instid0(VALU_DEP_1) | instskip(SKIP_1) | instid1(VALU_DEP_2)
	v_mbcnt_lo_u32_b32 v13, v17, 0
	v_cmp_ne_u32_e64 s0, 0, v17
	v_cmp_eq_u32_e32 vcc_lo, 0, v13
	s_delay_alu instid0(VALU_DEP_2) | instskip(NEXT) | instid1(SALU_CYCLE_1)
	s_and_b32 s8, s0, vcc_lo
	s_and_saveexec_b32 s0, s8
	s_cbranch_execz .LBB58_4
; %bb.3:
	s_waitcnt lgkmcnt(0)
	v_bcnt_u32_b32 v17, v17, v12
	ds_store_b32 v14, v17 offset:16
.LBB58_4:
	s_or_b32 exec_lo, exec_lo, s0
	v_and_b32_e32 v15, 0xffff, v15
	; wave barrier
	s_delay_alu instid0(VALU_DEP_1) | instskip(NEXT) | instid1(VALU_DEP_1)
	v_lshlrev_b32_e32 v15, s4, v15
	v_bfe_u32 v15, v15, s5, 16
	s_delay_alu instid0(VALU_DEP_1) | instskip(NEXT) | instid1(VALU_DEP_1)
	v_cndmask_b32_e64 v15, v15, 0, s1
	v_and_b32_e32 v17, 1, v15
	v_lshlrev_b32_e32 v18, 30, v15
	v_lshlrev_b32_e32 v20, 29, v15
	s_delay_alu instid0(VALU_DEP_3) | instskip(NEXT) | instid1(VALU_DEP_1)
	v_add_co_u32 v17, s0, v17, -1
	v_cndmask_b32_e64 v19, 0, 1, s0
	s_delay_alu instid0(VALU_DEP_4) | instskip(SKIP_2) | instid1(VALU_DEP_4)
	v_not_b32_e32 v21, v18
	v_cmp_gt_i32_e64 s0, 0, v18
	v_not_b32_e32 v18, v20
	v_cmp_ne_u32_e32 vcc_lo, 0, v19
	v_lshlrev_b32_e32 v19, 28, v15
	v_ashrrev_i32_e32 v21, 31, v21
	s_delay_alu instid0(VALU_DEP_4)
	v_ashrrev_i32_e32 v18, 31, v18
	v_mul_u32_u24_e32 v15, 5, v15
	v_xor_b32_e32 v17, vcc_lo, v17
	v_cmp_gt_i32_e32 vcc_lo, 0, v20
	v_not_b32_e32 v20, v19
	v_xor_b32_e32 v21, s0, v21
	v_cmp_gt_i32_e64 s0, 0, v19
	v_and_b32_e32 v17, exec_lo, v17
	v_xor_b32_e32 v18, vcc_lo, v18
	v_ashrrev_i32_e32 v19, 31, v20
	s_delay_alu instid0(VALU_DEP_3) | instskip(SKIP_1) | instid1(VALU_DEP_3)
	v_and_b32_e32 v20, v17, v21
	v_add_lshl_u32 v17, v16, v15, 2
	v_xor_b32_e32 v16, s0, v19
	s_delay_alu instid0(VALU_DEP_3) | instskip(SKIP_2) | instid1(VALU_DEP_1)
	v_and_b32_e32 v18, v20, v18
	ds_load_b32 v15, v17 offset:16
	; wave barrier
	v_and_b32_e32 v18, v18, v16
	v_mbcnt_lo_u32_b32 v16, v18, 0
	v_cmp_ne_u32_e64 s0, 0, v18
	s_delay_alu instid0(VALU_DEP_2) | instskip(NEXT) | instid1(VALU_DEP_2)
	v_cmp_eq_u32_e32 vcc_lo, 0, v16
	s_and_b32 s1, s0, vcc_lo
	s_delay_alu instid0(SALU_CYCLE_1)
	s_and_saveexec_b32 s0, s1
	s_cbranch_execz .LBB58_6
; %bb.5:
	s_waitcnt lgkmcnt(0)
	v_bcnt_u32_b32 v18, v18, v15
	ds_store_b32 v17, v18 offset:16
.LBB58_6:
	s_or_b32 exec_lo, exec_lo, s0
	; wave barrier
	s_waitcnt lgkmcnt(0)
	s_barrier
	buffer_gl0_inv
	ds_load_b32 v18, v10 offset:16
	v_and_b32_e32 v19, 15, v4
	v_min_u32_e32 v9, 0x44, v9
	s_mov_b32 s0, exec_lo
	s_delay_alu instid0(VALU_DEP_2) | instskip(SKIP_2) | instid1(VALU_DEP_1)
	v_cmp_ne_u32_e32 vcc_lo, 0, v19
	s_waitcnt lgkmcnt(0)
	v_mov_b32_dpp v20, v18 row_shr:1 row_mask:0xf bank_mask:0xf
	v_cndmask_b32_e32 v20, 0, v20, vcc_lo
	v_cmp_lt_u32_e32 vcc_lo, 1, v19
	s_delay_alu instid0(VALU_DEP_2) | instskip(NEXT) | instid1(VALU_DEP_1)
	v_add_nc_u32_e32 v18, v20, v18
	v_mov_b32_dpp v20, v18 row_shr:2 row_mask:0xf bank_mask:0xf
	s_delay_alu instid0(VALU_DEP_1) | instskip(SKIP_1) | instid1(VALU_DEP_2)
	v_cndmask_b32_e32 v20, 0, v20, vcc_lo
	v_cmp_lt_u32_e32 vcc_lo, 3, v19
	v_add_nc_u32_e32 v18, v18, v20
	s_delay_alu instid0(VALU_DEP_1) | instskip(NEXT) | instid1(VALU_DEP_1)
	v_mov_b32_dpp v20, v18 row_shr:4 row_mask:0xf bank_mask:0xf
	v_cndmask_b32_e32 v20, 0, v20, vcc_lo
	v_cmp_lt_u32_e32 vcc_lo, 7, v19
	s_delay_alu instid0(VALU_DEP_2) | instskip(NEXT) | instid1(VALU_DEP_1)
	v_add_nc_u32_e32 v18, v18, v20
	v_mov_b32_dpp v20, v18 row_shr:8 row_mask:0xf bank_mask:0xf
	s_delay_alu instid0(VALU_DEP_1) | instskip(SKIP_1) | instid1(VALU_DEP_2)
	v_cndmask_b32_e32 v19, 0, v20, vcc_lo
	v_bfe_i32 v20, v4, 4, 1
	v_add_nc_u32_e32 v18, v18, v19
	ds_swizzle_b32 v19, v18 offset:swizzle(BROADCAST,32,15)
	s_waitcnt lgkmcnt(0)
	v_and_b32_e32 v19, v20, v19
	v_add_nc_u32_e32 v20, 31, v9
	s_delay_alu instid0(VALU_DEP_2) | instskip(NEXT) | instid1(VALU_DEP_2)
	v_add_nc_u32_e32 v9, v18, v19
	v_cmpx_eq_u32_e64 v20, v1
	s_xor_b32 s0, exec_lo, s0
	s_cbranch_execz .LBB58_8
; %bb.7:
	v_lshlrev_b32_e32 v18, 2, v8
	ds_store_b32 v18, v9
.LBB58_8:
	s_or_b32 exec_lo, exec_lo, s0
	s_delay_alu instid0(SALU_CYCLE_1)
	s_mov_b32 s0, exec_lo
	s_waitcnt lgkmcnt(0)
	s_barrier
	buffer_gl0_inv
	v_cmpx_gt_u32_e32 4, v1
	s_cbranch_execz .LBB58_10
; %bb.9:
	ds_load_b32 v18, v10
	v_and_b32_e32 v19, 3, v4
	s_delay_alu instid0(VALU_DEP_1) | instskip(SKIP_2) | instid1(VALU_DEP_1)
	v_cmp_ne_u32_e32 vcc_lo, 0, v19
	s_waitcnt lgkmcnt(0)
	v_mov_b32_dpp v20, v18 row_shr:1 row_mask:0xf bank_mask:0xf
	v_cndmask_b32_e32 v20, 0, v20, vcc_lo
	v_cmp_lt_u32_e32 vcc_lo, 1, v19
	s_delay_alu instid0(VALU_DEP_2) | instskip(NEXT) | instid1(VALU_DEP_1)
	v_add_nc_u32_e32 v18, v20, v18
	v_mov_b32_dpp v20, v18 row_shr:2 row_mask:0xf bank_mask:0xf
	s_delay_alu instid0(VALU_DEP_1) | instskip(NEXT) | instid1(VALU_DEP_1)
	v_cndmask_b32_e32 v19, 0, v20, vcc_lo
	v_add_nc_u32_e32 v18, v18, v19
	ds_store_b32 v10, v18
.LBB58_10:
	s_or_b32 exec_lo, exec_lo, s0
	v_cmp_lt_u32_e32 vcc_lo, 31, v1
	v_mov_b32_e32 v1, 0
	s_waitcnt lgkmcnt(0)
	s_barrier
	buffer_gl0_inv
	s_and_saveexec_b32 s0, vcc_lo
	s_cbranch_execz .LBB58_12
; %bb.11:
	v_lshl_add_u32 v1, v8, 2, -4
	ds_load_b32 v1, v1
.LBB58_12:
	s_or_b32 exec_lo, exec_lo, s0
	v_add_nc_u32_e32 v8, -1, v4
	v_lshlrev_b32_e32 v5, 2, v5
	s_lshl_b64 s[0:1], s[2:3], 2
	s_waitcnt lgkmcnt(0)
	v_add_nc_u32_e32 v9, v1, v9
	s_add_u32 s0, s6, s0
	v_cmp_gt_i32_e32 vcc_lo, 0, v8
	s_addc_u32 s1, s7, s1
	v_cndmask_b32_e32 v8, v8, v4, vcc_lo
	v_cmp_eq_u32_e32 vcc_lo, 0, v4
	s_delay_alu instid0(VALU_DEP_2)
	v_lshlrev_b32_e32 v8, 2, v8
	ds_bpermute_b32 v8, v8, v9
	v_lshlrev_b32_e32 v9, 2, v3
	v_lshl_add_u32 v3, v6, 2, v5
	v_lshl_add_u32 v6, v7, 2, v5
	s_waitcnt lgkmcnt(0)
	v_cndmask_b32_e32 v1, v8, v1, vcc_lo
	ds_store_b32 v10, v1 offset:16
	s_waitcnt lgkmcnt(0)
	s_barrier
	buffer_gl0_inv
	ds_load_b32 v1, v11 offset:16
	ds_load_b32 v4, v14 offset:16
	;; [unrolled: 1-line block ×3, first 2 shown]
	s_waitcnt lgkmcnt(0)
	s_barrier
	buffer_gl0_inv
	v_add_nc_u32_e32 v0, v1, v0
	v_add3_u32 v1, v13, v12, v4
	v_add3_u32 v4, v16, v15, v8
	ds_store_b32 v5, v0
	ds_store_b32 v3, v1
	;; [unrolled: 1-line block ×3, first 2 shown]
	v_lshlrev_b32_e32 v0, 2, v2
	; wave barrier
	ds_load_2addr_b32 v[3:4], v9 offset1:1
	ds_load_b32 v5, v9 offset:8
	s_waitcnt lgkmcnt(0)
	global_store_b96 v0, v[3:5], s[0:1]
	s_nop 0
	s_sendmsg sendmsg(MSG_DEALLOC_VGPRS)
	s_endpgm
	.section	.rodata,"a",@progbits
	.p2align	6, 0x0
	.amdhsa_kernel _Z11rank_kernelILj100ELj3ELj4ELb0EL18RadixRankAlgorithm2EtEvPKT4_Pijj
		.amdhsa_group_segment_fixed_size 1200
		.amdhsa_private_segment_fixed_size 0
		.amdhsa_kernarg_size 280
		.amdhsa_user_sgpr_count 15
		.amdhsa_user_sgpr_dispatch_ptr 0
		.amdhsa_user_sgpr_queue_ptr 0
		.amdhsa_user_sgpr_kernarg_segment_ptr 1
		.amdhsa_user_sgpr_dispatch_id 0
		.amdhsa_user_sgpr_private_segment_size 0
		.amdhsa_wavefront_size32 1
		.amdhsa_uses_dynamic_stack 0
		.amdhsa_enable_private_segment 0
		.amdhsa_system_sgpr_workgroup_id_x 1
		.amdhsa_system_sgpr_workgroup_id_y 0
		.amdhsa_system_sgpr_workgroup_id_z 0
		.amdhsa_system_sgpr_workgroup_info 0
		.amdhsa_system_vgpr_workitem_id 2
		.amdhsa_next_free_vgpr 22
		.amdhsa_next_free_sgpr 16
		.amdhsa_reserve_vcc 1
		.amdhsa_float_round_mode_32 0
		.amdhsa_float_round_mode_16_64 0
		.amdhsa_float_denorm_mode_32 3
		.amdhsa_float_denorm_mode_16_64 3
		.amdhsa_dx10_clamp 1
		.amdhsa_ieee_mode 1
		.amdhsa_fp16_overflow 0
		.amdhsa_workgroup_processor_mode 1
		.amdhsa_memory_ordered 1
		.amdhsa_forward_progress 0
		.amdhsa_shared_vgpr_count 0
		.amdhsa_exception_fp_ieee_invalid_op 0
		.amdhsa_exception_fp_denorm_src 0
		.amdhsa_exception_fp_ieee_div_zero 0
		.amdhsa_exception_fp_ieee_overflow 0
		.amdhsa_exception_fp_ieee_underflow 0
		.amdhsa_exception_fp_ieee_inexact 0
		.amdhsa_exception_int_div_zero 0
	.end_amdhsa_kernel
	.section	.text._Z11rank_kernelILj100ELj3ELj4ELb0EL18RadixRankAlgorithm2EtEvPKT4_Pijj,"axG",@progbits,_Z11rank_kernelILj100ELj3ELj4ELb0EL18RadixRankAlgorithm2EtEvPKT4_Pijj,comdat
.Lfunc_end58:
	.size	_Z11rank_kernelILj100ELj3ELj4ELb0EL18RadixRankAlgorithm2EtEvPKT4_Pijj, .Lfunc_end58-_Z11rank_kernelILj100ELj3ELj4ELb0EL18RadixRankAlgorithm2EtEvPKT4_Pijj
                                        ; -- End function
	.section	.AMDGPU.csdata,"",@progbits
; Kernel info:
; codeLenInByte = 1724
; NumSgprs: 18
; NumVgprs: 22
; ScratchSize: 0
; MemoryBound: 0
; FloatMode: 240
; IeeeMode: 1
; LDSByteSize: 1200 bytes/workgroup (compile time only)
; SGPRBlocks: 2
; VGPRBlocks: 2
; NumSGPRsForWavesPerEU: 18
; NumVGPRsForWavesPerEU: 22
; Occupancy: 16
; WaveLimiterHint : 0
; COMPUTE_PGM_RSRC2:SCRATCH_EN: 0
; COMPUTE_PGM_RSRC2:USER_SGPR: 15
; COMPUTE_PGM_RSRC2:TRAP_HANDLER: 0
; COMPUTE_PGM_RSRC2:TGID_X_EN: 1
; COMPUTE_PGM_RSRC2:TGID_Y_EN: 0
; COMPUTE_PGM_RSRC2:TGID_Z_EN: 0
; COMPUTE_PGM_RSRC2:TIDIG_COMP_CNT: 2
	.section	.text._Z11rank_kernelILj464ELj2ELj4ELb1EL18RadixRankAlgorithm2EcEvPKT4_Pijj,"axG",@progbits,_Z11rank_kernelILj464ELj2ELj4ELb1EL18RadixRankAlgorithm2EcEvPKT4_Pijj,comdat
	.protected	_Z11rank_kernelILj464ELj2ELj4ELb1EL18RadixRankAlgorithm2EcEvPKT4_Pijj ; -- Begin function _Z11rank_kernelILj464ELj2ELj4ELb1EL18RadixRankAlgorithm2EcEvPKT4_Pijj
	.globl	_Z11rank_kernelILj464ELj2ELj4ELb1EL18RadixRankAlgorithm2EcEvPKT4_Pijj
	.p2align	8
	.type	_Z11rank_kernelILj464ELj2ELj4ELb1EL18RadixRankAlgorithm2EcEvPKT4_Pijj,@function
_Z11rank_kernelILj464ELj2ELj4ELb1EL18RadixRankAlgorithm2EcEvPKT4_Pijj: ; @_Z11rank_kernelILj464ELj2ELj4ELb1EL18RadixRankAlgorithm2EcEvPKT4_Pijj
; %bb.0:
	s_clause 0x1
	s_load_b128 s[4:7], s[0:1], 0x0
	s_load_b64 s[2:3], s[0:1], 0x10
	v_and_b32_e32 v1, 0x3ff, v0
	s_mul_i32 s8, s15, 0x3a0
	v_mbcnt_lo_u32_b32 v5, -1, 0
	s_load_b32 s0, s[0:1], 0x24
	v_bfe_u32 v16, v0, 10, 10
	v_lshlrev_b32_e32 v2, 1, v1
	v_and_b32_e32 v10, 0x1e0, v1
	v_bfe_u32 v0, v0, 20, 10
	s_mov_b32 s9, 0
	s_delay_alu instid0(VALU_DEP_3) | instskip(NEXT) | instid1(VALU_DEP_3)
	v_and_b32_e32 v7, 0x3c0, v2
	v_or_b32_e32 v4, v5, v10
	v_cmp_eq_u32_e32 vcc_lo, 0x1c0, v10
	s_delay_alu instid0(VALU_DEP_3) | instskip(NEXT) | instid1(VALU_DEP_3)
	v_lshrrev_b32_e32 v6, 5, v7
	v_bfe_u32 v3, v4, 4, 27
	v_lshlrev_b32_e32 v4, 1, v4
	s_waitcnt lgkmcnt(0)
	s_add_u32 s4, s4, s8
	s_addc_u32 s5, s5, 0
	v_cndmask_b32_e64 v11, 32, 16, vcc_lo
	global_load_u16 v9, v2, s[4:5]
	v_and_b32_e32 v8, 28, v3
	v_or_b32_e32 v7, v5, v7
	v_and_b32_e32 v12, 28, v6
	s_lshr_b32 s4, s0, 16
	s_and_b32 s5, s0, 0xffff
	v_add_nc_u32_e32 v13, v8, v4
	v_add_nc_u32_e32 v8, v7, v11
	;; [unrolled: 1-line block ×3, first 2 shown]
	s_and_b32 s0, s3, 31
	v_mad_u32_u24 v0, v0, s4, v16
	s_cmp_eq_u32 s0, 0
	s_cselect_b32 s1, -1, 0
	s_and_b32 s2, s2, 31
	s_sub_i32 s3, 32, s0
	s_add_i32 s2, s2, s0
	s_delay_alu instid0(SALU_CYCLE_1)
	s_sub_i32 s2, 32, s2
	s_waitcnt vmcnt(0)
	v_lshrrev_b16 v14, 8, v9
	ds_store_b8 v13, v9
	ds_store_b8 v13, v14 offset:1
	; wave barrier
	ds_load_u8 v11, v11
	v_lshrrev_b32_e32 v9, 5, v8
	s_delay_alu instid0(VALU_DEP_1) | instskip(NEXT) | instid1(VALU_DEP_1)
	v_and_b32_e32 v12, 60, v9
	v_add_nc_u32_e32 v12, v12, v8
	ds_load_u8 v13, v12
	s_waitcnt lgkmcnt(0)
	s_barrier
	buffer_gl0_inv
	v_xor_b32_e32 v11, 0x80, v11
	s_delay_alu instid0(VALU_DEP_1) | instskip(NEXT) | instid1(VALU_DEP_1)
	v_lshlrev_b32_e32 v11, s2, v11
	v_bfe_u32 v11, v11, s3, 8
	s_delay_alu instid0(VALU_DEP_1) | instskip(NEXT) | instid1(VALU_DEP_1)
	v_xor_b32_e32 v11, 15, v11
	v_cndmask_b32_e64 v12, v11, 15, s1
	s_delay_alu instid0(VALU_DEP_1) | instskip(SKIP_2) | instid1(VALU_DEP_3)
	v_and_b32_e32 v11, 1, v12
	v_lshlrev_b32_e32 v14, 30, v12
	v_lshlrev_b32_e32 v17, 29, v12
	v_add_co_u32 v11, s0, v11, -1
	s_delay_alu instid0(VALU_DEP_1) | instskip(NEXT) | instid1(VALU_DEP_4)
	v_cndmask_b32_e64 v15, 0, 1, s0
	v_not_b32_e32 v18, v14
	v_cmp_gt_i32_e64 s0, 0, v14
	v_not_b32_e32 v14, v17
	s_delay_alu instid0(VALU_DEP_4) | instskip(SKIP_2) | instid1(VALU_DEP_4)
	v_cmp_ne_u32_e32 vcc_lo, 0, v15
	v_lshlrev_b32_e32 v15, 28, v12
	v_ashrrev_i32_e32 v18, 31, v18
	v_ashrrev_i32_e32 v14, 31, v14
	v_mul_u32_u24_e32 v12, 15, v12
	v_xor_b32_e32 v11, vcc_lo, v11
	v_cmp_gt_i32_e32 vcc_lo, 0, v17
	v_not_b32_e32 v17, v15
	v_xor_b32_e32 v18, s0, v18
	v_cmp_gt_i32_e64 s0, 0, v15
	v_and_b32_e32 v11, exec_lo, v11
	s_delay_alu instid0(VALU_DEP_4) | instskip(SKIP_2) | instid1(VALU_DEP_4)
	v_ashrrev_i32_e32 v16, 31, v17
	v_xor_b32_e32 v17, vcc_lo, v14
	v_mad_u64_u32 v[14:15], null, v0, s5, v[1:2]
	v_and_b32_e32 v11, v11, v18
	s_delay_alu instid0(VALU_DEP_4) | instskip(NEXT) | instid1(VALU_DEP_2)
	v_xor_b32_e32 v0, s0, v16
	v_dual_mov_b32 v16, 0 :: v_dual_and_b32 v11, v11, v17
	s_delay_alu instid0(VALU_DEP_4) | instskip(NEXT) | instid1(VALU_DEP_2)
	v_lshrrev_b32_e32 v14, 5, v14
	v_and_b32_e32 v15, v11, v0
	v_lshlrev_b32_e32 v11, 2, v1
	s_delay_alu instid0(VALU_DEP_3) | instskip(NEXT) | instid1(VALU_DEP_3)
	v_add_lshl_u32 v12, v14, v12, 2
	v_mbcnt_lo_u32_b32 v0, v15, 0
	v_cmp_ne_u32_e64 s0, 0, v15
	ds_store_b32 v11, v16 offset:60
	s_waitcnt lgkmcnt(0)
	s_barrier
	v_cmp_eq_u32_e32 vcc_lo, 0, v0
	buffer_gl0_inv
	; wave barrier
	s_and_b32 s4, s0, vcc_lo
	s_delay_alu instid0(SALU_CYCLE_1)
	s_and_saveexec_b32 s0, s4
	s_cbranch_execz .LBB59_2
; %bb.1:
	v_bcnt_u32_b32 v15, v15, 0
	ds_store_b32 v12, v15 offset:60
.LBB59_2:
	s_or_b32 exec_lo, exec_lo, s0
	v_xor_b32_e32 v13, 0x80, v13
	; wave barrier
	s_delay_alu instid0(VALU_DEP_1) | instskip(NEXT) | instid1(VALU_DEP_1)
	v_and_b32_e32 v13, 0xff, v13
	v_lshlrev_b32_e32 v13, s2, v13
	s_delay_alu instid0(VALU_DEP_1) | instskip(NEXT) | instid1(VALU_DEP_1)
	v_bfe_u32 v13, v13, s3, 8
	v_xor_b32_e32 v13, 15, v13
	s_delay_alu instid0(VALU_DEP_1) | instskip(NEXT) | instid1(VALU_DEP_1)
	v_cndmask_b32_e64 v13, v13, 15, s1
	v_and_b32_e32 v15, 1, v13
	v_lshlrev_b32_e32 v16, 30, v13
	v_lshlrev_b32_e32 v18, 29, v13
	s_delay_alu instid0(VALU_DEP_3) | instskip(NEXT) | instid1(VALU_DEP_1)
	v_add_co_u32 v15, s0, v15, -1
	v_cndmask_b32_e64 v17, 0, 1, s0
	s_delay_alu instid0(VALU_DEP_4) | instskip(SKIP_2) | instid1(VALU_DEP_4)
	v_not_b32_e32 v19, v16
	v_cmp_gt_i32_e64 s0, 0, v16
	v_not_b32_e32 v16, v18
	v_cmp_ne_u32_e32 vcc_lo, 0, v17
	v_lshlrev_b32_e32 v17, 28, v13
	v_ashrrev_i32_e32 v19, 31, v19
	s_delay_alu instid0(VALU_DEP_4)
	v_ashrrev_i32_e32 v16, 31, v16
	v_mul_u32_u24_e32 v13, 15, v13
	v_xor_b32_e32 v15, vcc_lo, v15
	v_cmp_gt_i32_e32 vcc_lo, 0, v18
	v_not_b32_e32 v18, v17
	v_xor_b32_e32 v19, s0, v19
	v_cmp_gt_i32_e64 s0, 0, v17
	v_and_b32_e32 v15, exec_lo, v15
	v_xor_b32_e32 v16, vcc_lo, v16
	v_ashrrev_i32_e32 v17, 31, v18
	s_delay_alu instid0(VALU_DEP_3) | instskip(SKIP_1) | instid1(VALU_DEP_3)
	v_and_b32_e32 v18, v15, v19
	v_add_lshl_u32 v15, v14, v13, 2
	v_xor_b32_e32 v14, s0, v17
	s_delay_alu instid0(VALU_DEP_3) | instskip(SKIP_2) | instid1(VALU_DEP_1)
	v_and_b32_e32 v16, v18, v16
	ds_load_b32 v13, v15 offset:60
	; wave barrier
	v_and_b32_e32 v16, v16, v14
	v_mbcnt_lo_u32_b32 v14, v16, 0
	v_cmp_ne_u32_e64 s0, 0, v16
	s_delay_alu instid0(VALU_DEP_2) | instskip(NEXT) | instid1(VALU_DEP_2)
	v_cmp_eq_u32_e32 vcc_lo, 0, v14
	s_and_b32 s1, s0, vcc_lo
	s_delay_alu instid0(SALU_CYCLE_1)
	s_and_saveexec_b32 s0, s1
	s_cbranch_execz .LBB59_4
; %bb.3:
	s_waitcnt lgkmcnt(0)
	v_bcnt_u32_b32 v16, v16, v13
	ds_store_b32 v15, v16 offset:60
.LBB59_4:
	s_or_b32 exec_lo, exec_lo, s0
	; wave barrier
	s_waitcnt lgkmcnt(0)
	s_barrier
	buffer_gl0_inv
	ds_load_b32 v16, v11 offset:60
	v_and_b32_e32 v17, 15, v5
	v_min_u32_e32 v10, 0x1b0, v10
	s_delay_alu instid0(VALU_DEP_2) | instskip(SKIP_4) | instid1(VALU_DEP_1)
	v_cmp_eq_u32_e32 vcc_lo, 0, v17
	v_cmp_lt_u32_e64 s0, 1, v17
	v_cmp_lt_u32_e64 s1, 3, v17
	;; [unrolled: 1-line block ×3, first 2 shown]
	v_add_nc_u32_e32 v19, 31, v10
	v_cmp_eq_u32_e64 s3, v19, v1
	s_waitcnt lgkmcnt(0)
	v_mov_b32_dpp v18, v16 row_shr:1 row_mask:0xf bank_mask:0xf
	s_delay_alu instid0(VALU_DEP_1) | instskip(NEXT) | instid1(VALU_DEP_1)
	v_cndmask_b32_e64 v18, v18, 0, vcc_lo
	v_add_nc_u32_e32 v16, v18, v16
	s_delay_alu instid0(VALU_DEP_1) | instskip(NEXT) | instid1(VALU_DEP_1)
	v_mov_b32_dpp v18, v16 row_shr:2 row_mask:0xf bank_mask:0xf
	v_cndmask_b32_e64 v18, 0, v18, s0
	s_delay_alu instid0(VALU_DEP_1) | instskip(NEXT) | instid1(VALU_DEP_1)
	v_add_nc_u32_e32 v16, v16, v18
	v_mov_b32_dpp v18, v16 row_shr:4 row_mask:0xf bank_mask:0xf
	s_delay_alu instid0(VALU_DEP_1) | instskip(NEXT) | instid1(VALU_DEP_1)
	v_cndmask_b32_e64 v18, 0, v18, s1
	v_add_nc_u32_e32 v16, v16, v18
	s_delay_alu instid0(VALU_DEP_1) | instskip(NEXT) | instid1(VALU_DEP_1)
	v_mov_b32_dpp v18, v16 row_shr:8 row_mask:0xf bank_mask:0xf
	v_cndmask_b32_e64 v17, 0, v18, s2
	v_bfe_i32 v18, v5, 4, 1
	s_delay_alu instid0(VALU_DEP_2) | instskip(SKIP_4) | instid1(VALU_DEP_2)
	v_add_nc_u32_e32 v17, v16, v17
	ds_swizzle_b32 v16, v17 offset:swizzle(BROADCAST,32,15)
	s_waitcnt lgkmcnt(0)
	v_and_b32_e32 v18, v18, v16
	v_lshrrev_b32_e32 v16, 5, v1
	v_add_nc_u32_e32 v10, v17, v18
	s_and_saveexec_b32 s4, s3
	s_delay_alu instid0(SALU_CYCLE_1)
	s_xor_b32 s3, exec_lo, s4
	s_cbranch_execz .LBB59_6
; %bb.5:
	v_lshlrev_b32_e32 v17, 2, v16
	ds_store_b32 v17, v10
.LBB59_6:
	s_or_b32 exec_lo, exec_lo, s3
	s_delay_alu instid0(SALU_CYCLE_1)
	s_mov_b32 s4, exec_lo
	s_waitcnt lgkmcnt(0)
	s_barrier
	buffer_gl0_inv
	v_cmpx_gt_u32_e32 15, v1
	s_cbranch_execz .LBB59_8
; %bb.7:
	ds_load_b32 v17, v11
	s_waitcnt lgkmcnt(0)
	v_mov_b32_dpp v18, v17 row_shr:1 row_mask:0xf bank_mask:0xf
	s_delay_alu instid0(VALU_DEP_1) | instskip(NEXT) | instid1(VALU_DEP_1)
	v_cndmask_b32_e64 v18, v18, 0, vcc_lo
	v_add_nc_u32_e32 v17, v18, v17
	s_delay_alu instid0(VALU_DEP_1) | instskip(NEXT) | instid1(VALU_DEP_1)
	v_mov_b32_dpp v18, v17 row_shr:2 row_mask:0xf bank_mask:0xf
	v_cndmask_b32_e64 v18, 0, v18, s0
	s_delay_alu instid0(VALU_DEP_1) | instskip(NEXT) | instid1(VALU_DEP_1)
	v_add_nc_u32_e32 v17, v17, v18
	v_mov_b32_dpp v18, v17 row_shr:4 row_mask:0xf bank_mask:0xf
	s_delay_alu instid0(VALU_DEP_1) | instskip(NEXT) | instid1(VALU_DEP_1)
	v_cndmask_b32_e64 v18, 0, v18, s1
	v_add_nc_u32_e32 v17, v17, v18
	s_delay_alu instid0(VALU_DEP_1) | instskip(NEXT) | instid1(VALU_DEP_1)
	v_mov_b32_dpp v18, v17 row_shr:8 row_mask:0xf bank_mask:0xf
	v_cndmask_b32_e64 v18, 0, v18, s2
	s_delay_alu instid0(VALU_DEP_1)
	v_add_nc_u32_e32 v17, v17, v18
	ds_store_b32 v11, v17
.LBB59_8:
	s_or_b32 exec_lo, exec_lo, s4
	v_cmp_lt_u32_e32 vcc_lo, 31, v1
	v_mov_b32_e32 v1, 0
	s_waitcnt lgkmcnt(0)
	s_barrier
	buffer_gl0_inv
	s_and_saveexec_b32 s0, vcc_lo
	s_cbranch_execz .LBB59_10
; %bb.9:
	v_lshl_add_u32 v1, v16, 2, -4
	ds_load_b32 v1, v1
.LBB59_10:
	s_or_b32 exec_lo, exec_lo, s0
	v_add_nc_u32_e32 v16, -1, v5
	s_waitcnt lgkmcnt(0)
	v_add_nc_u32_e32 v10, v1, v10
	v_add_lshl_u32 v6, v6, v7, 2
	v_add_lshl_u32 v3, v3, v4, 2
	;; [unrolled: 1-line block ×3, first 2 shown]
	v_cmp_gt_i32_e32 vcc_lo, 0, v16
	s_lshl_b64 s[0:1], s[8:9], 2
	v_lshlrev_b32_e32 v2, 2, v2
	s_add_u32 s0, s6, s0
	s_addc_u32 s1, s7, s1
	v_cndmask_b32_e32 v16, v16, v5, vcc_lo
	v_cmp_eq_u32_e32 vcc_lo, 0, v5
	s_delay_alu instid0(VALU_DEP_2)
	v_lshlrev_b32_e32 v16, 2, v16
	ds_bpermute_b32 v10, v16, v10
	s_waitcnt lgkmcnt(0)
	v_cndmask_b32_e32 v1, v10, v1, vcc_lo
	ds_store_b32 v11, v1 offset:60
	s_waitcnt lgkmcnt(0)
	s_barrier
	buffer_gl0_inv
	ds_load_b32 v1, v12 offset:60
	ds_load_b32 v5, v15 offset:60
	s_waitcnt lgkmcnt(0)
	s_barrier
	buffer_gl0_inv
	v_add_nc_u32_e32 v0, v1, v0
	v_add3_u32 v1, v14, v13, v5
	ds_store_b32 v6, v0
	ds_store_b32 v7, v1
	; wave barrier
	ds_load_2addr_b32 v[0:1], v3 offset1:1
	s_waitcnt lgkmcnt(0)
	global_store_b64 v2, v[0:1], s[0:1]
	s_nop 0
	s_sendmsg sendmsg(MSG_DEALLOC_VGPRS)
	s_endpgm
	.section	.rodata,"a",@progbits
	.p2align	6, 0x0
	.amdhsa_kernel _Z11rank_kernelILj464ELj2ELj4ELb1EL18RadixRankAlgorithm2EcEvPKT4_Pijj
		.amdhsa_group_segment_fixed_size 3840
		.amdhsa_private_segment_fixed_size 0
		.amdhsa_kernarg_size 280
		.amdhsa_user_sgpr_count 15
		.amdhsa_user_sgpr_dispatch_ptr 0
		.amdhsa_user_sgpr_queue_ptr 0
		.amdhsa_user_sgpr_kernarg_segment_ptr 1
		.amdhsa_user_sgpr_dispatch_id 0
		.amdhsa_user_sgpr_private_segment_size 0
		.amdhsa_wavefront_size32 1
		.amdhsa_uses_dynamic_stack 0
		.amdhsa_enable_private_segment 0
		.amdhsa_system_sgpr_workgroup_id_x 1
		.amdhsa_system_sgpr_workgroup_id_y 0
		.amdhsa_system_sgpr_workgroup_id_z 0
		.amdhsa_system_sgpr_workgroup_info 0
		.amdhsa_system_vgpr_workitem_id 2
		.amdhsa_next_free_vgpr 20
		.amdhsa_next_free_sgpr 16
		.amdhsa_reserve_vcc 1
		.amdhsa_float_round_mode_32 0
		.amdhsa_float_round_mode_16_64 0
		.amdhsa_float_denorm_mode_32 3
		.amdhsa_float_denorm_mode_16_64 3
		.amdhsa_dx10_clamp 1
		.amdhsa_ieee_mode 1
		.amdhsa_fp16_overflow 0
		.amdhsa_workgroup_processor_mode 1
		.amdhsa_memory_ordered 1
		.amdhsa_forward_progress 0
		.amdhsa_shared_vgpr_count 0
		.amdhsa_exception_fp_ieee_invalid_op 0
		.amdhsa_exception_fp_denorm_src 0
		.amdhsa_exception_fp_ieee_div_zero 0
		.amdhsa_exception_fp_ieee_overflow 0
		.amdhsa_exception_fp_ieee_underflow 0
		.amdhsa_exception_fp_ieee_inexact 0
		.amdhsa_exception_int_div_zero 0
	.end_amdhsa_kernel
	.section	.text._Z11rank_kernelILj464ELj2ELj4ELb1EL18RadixRankAlgorithm2EcEvPKT4_Pijj,"axG",@progbits,_Z11rank_kernelILj464ELj2ELj4ELb1EL18RadixRankAlgorithm2EcEvPKT4_Pijj,comdat
.Lfunc_end59:
	.size	_Z11rank_kernelILj464ELj2ELj4ELb1EL18RadixRankAlgorithm2EcEvPKT4_Pijj, .Lfunc_end59-_Z11rank_kernelILj464ELj2ELj4ELb1EL18RadixRankAlgorithm2EcEvPKT4_Pijj
                                        ; -- End function
	.section	.AMDGPU.csdata,"",@progbits
; Kernel info:
; codeLenInByte = 1536
; NumSgprs: 18
; NumVgprs: 20
; ScratchSize: 0
; MemoryBound: 0
; FloatMode: 240
; IeeeMode: 1
; LDSByteSize: 3840 bytes/workgroup (compile time only)
; SGPRBlocks: 2
; VGPRBlocks: 2
; NumSGPRsForWavesPerEU: 18
; NumVGPRsForWavesPerEU: 20
; Occupancy: 15
; WaveLimiterHint : 0
; COMPUTE_PGM_RSRC2:SCRATCH_EN: 0
; COMPUTE_PGM_RSRC2:USER_SGPR: 15
; COMPUTE_PGM_RSRC2:TRAP_HANDLER: 0
; COMPUTE_PGM_RSRC2:TGID_X_EN: 1
; COMPUTE_PGM_RSRC2:TGID_Y_EN: 0
; COMPUTE_PGM_RSRC2:TGID_Z_EN: 0
; COMPUTE_PGM_RSRC2:TIDIG_COMP_CNT: 2
	.section	.text._Z11rank_kernelILj33ELj5ELj4ELb0EL18RadixRankAlgorithm2EdEvPKT4_Pijj,"axG",@progbits,_Z11rank_kernelILj33ELj5ELj4ELb0EL18RadixRankAlgorithm2EdEvPKT4_Pijj,comdat
	.protected	_Z11rank_kernelILj33ELj5ELj4ELb0EL18RadixRankAlgorithm2EdEvPKT4_Pijj ; -- Begin function _Z11rank_kernelILj33ELj5ELj4ELb0EL18RadixRankAlgorithm2EdEvPKT4_Pijj
	.globl	_Z11rank_kernelILj33ELj5ELj4ELb0EL18RadixRankAlgorithm2EdEvPKT4_Pijj
	.p2align	8
	.type	_Z11rank_kernelILj33ELj5ELj4ELb0EL18RadixRankAlgorithm2EdEvPKT4_Pijj,@function
_Z11rank_kernelILj33ELj5ELj4ELb0EL18RadixRankAlgorithm2EdEvPKT4_Pijj: ; @_Z11rank_kernelILj33ELj5ELj4ELb0EL18RadixRankAlgorithm2EdEvPKT4_Pijj
; %bb.0:
	s_clause 0x1
	s_load_b128 s[4:7], s[0:1], 0x0
	s_load_b64 s[8:9], s[0:1], 0x10
	v_and_b32_e32 v1, 0x3ff, v0
	s_mov_b32 s3, 0
	s_mul_i32 s2, s15, 0xa5
	v_mbcnt_lo_u32_b32 v21, -1, 0
	s_lshl_b64 s[10:11], s[2:3], 3
	v_mul_u32_u24_e32 v13, 5, v1
	v_lshrrev_b32_e32 v20, 5, v1
	v_and_b32_e32 v12, 32, v1
	s_delay_alu instid0(VALU_DEP_3) | instskip(NEXT) | instid1(VALU_DEP_3)
	v_lshlrev_b32_e32 v10, 3, v13
	v_mul_u32_u24_e32 v14, 0xa0, v20
	s_delay_alu instid0(VALU_DEP_3) | instskip(NEXT) | instid1(VALU_DEP_2)
	v_cmp_ne_u32_e32 vcc_lo, 0, v12
	v_or_b32_e32 v19, v21, v14
	v_cndmask_b32_e64 v12, 5, 0, vcc_lo
	s_waitcnt lgkmcnt(0)
	s_add_u32 s4, s4, s10
	s_addc_u32 s5, s5, s11
	v_mad_u32_u24 v14, v21, 5, v14
	s_clause 0x2
	global_load_b128 v[2:5], v10, s[4:5]
	global_load_b128 v[6:9], v10, s[4:5] offset:16
	global_load_b64 v[10:11], v10, s[4:5] offset:32
	v_lshlrev_b32_e64 v15, v12, 1
	v_lshlrev_b32_e32 v22, 3, v19
	v_lshlrev_b32_e64 v16, v12, 2
	v_lshlrev_b32_e64 v17, v12, 3
	;; [unrolled: 1-line block ×3, first 2 shown]
	v_lshlrev_b32_e32 v12, 3, v14
	s_load_b32 s5, s[0:1], 0x24
	v_lshl_add_u32 v23, v15, 3, v22
	v_lshl_add_u32 v24, v16, 3, v22
	;; [unrolled: 1-line block ×4, first 2 shown]
	s_and_b32 s4, s9, 63
	s_mov_b32 s0, -1
	s_waitcnt vmcnt(2)
	ds_store_2addr_b64 v12, v[2:3], v[4:5] offset1:1
	s_waitcnt vmcnt(1)
	ds_store_2addr_b64 v12, v[6:7], v[8:9] offset0:2 offset1:3
	s_waitcnt vmcnt(0)
	ds_store_b64 v12, v[10:11] offset:32
	v_mov_b32_e32 v10, 0
	; wave barrier
	ds_load_b64 v[11:12], v22
	ds_load_b64 v[8:9], v23
	;; [unrolled: 1-line block ×5, first 2 shown]
	v_bfe_u32 v23, v0, 20, 10
	s_waitcnt lgkmcnt(0)
	s_lshr_b32 s1, s5, 16
	v_lshlrev_b32_e32 v22, 3, v1
	v_mov_b32_e32 v24, 0
	v_bfe_u32 v0, v0, 10, 10
	v_mul_u32_u24_e32 v23, s1, v23
	s_cmp_lg_u32 s4, 0
	s_cselect_b32 s9, -1, 0
	s_cmp_eq_u32 s4, 0
	s_barrier
	buffer_gl0_inv
	ds_store_2addr_b32 v22, v24, v24 offset0:2 offset1:3
	s_waitcnt lgkmcnt(0)
	s_barrier
	buffer_gl0_inv
	s_cbranch_scc1 .LBB60_2
; %bb.1:
	v_cmp_lt_i64_e32 vcc_lo, -1, v[11:12]
	v_ashrrev_i32_e32 v24, 31, v12
	s_brev_b32 s1, -2
	s_delay_alu instid0(VALU_DEP_1) | instskip(SKIP_1) | instid1(VALU_DEP_1)
	v_xor_b32_e32 v11, v24, v11
	v_cndmask_b32_e64 v10, -1, 0x80000000, vcc_lo
	v_xor_b32_e32 v12, v10, v12
	s_delay_alu instid0(VALU_DEP_1) | instskip(SKIP_1) | instid1(SALU_CYCLE_1)
	v_cmp_ne_u64_e32 vcc_lo, s[0:1], v[11:12]
	s_and_b32 s0, s8, 63
	s_add_i32 s0, s0, s4
	s_delay_alu instid0(SALU_CYCLE_1) | instskip(SKIP_2) | instid1(VALU_DEP_1)
	s_sub_i32 s0, 64, s0
	v_cndmask_b32_e32 v12, 0x80000000, v12, vcc_lo
	v_cndmask_b32_e32 v11, 0, v11, vcc_lo
	v_lshlrev_b64 v[10:11], s0, v[11:12]
	s_sub_i32 s0, 64, s4
	s_delay_alu instid0(VALU_DEP_1) | instid1(SALU_CYCLE_1)
	v_lshrrev_b64 v[10:11], s0, v[10:11]
.LBB60_2:
	s_delay_alu instid0(VALU_DEP_1) | instskip(SKIP_3) | instid1(VALU_DEP_4)
	v_and_b32_e32 v11, 1, v10
	v_lshlrev_b32_e32 v12, 30, v10
	v_lshlrev_b32_e32 v25, 29, v10
	v_add_nc_u32_e32 v0, v23, v0
	v_add_co_u32 v11, s0, v11, -1
	s_delay_alu instid0(VALU_DEP_1) | instskip(SKIP_3) | instid1(VALU_DEP_4)
	v_cndmask_b32_e64 v24, 0, 1, s0
	v_not_b32_e32 v26, v12
	v_cmp_gt_i32_e64 s0, 0, v12
	v_not_b32_e32 v12, v25
	; wave barrier
	v_cmp_ne_u32_e32 vcc_lo, 0, v24
	v_lshlrev_b32_e32 v24, 28, v10
	v_ashrrev_i32_e32 v26, 31, v26
	s_delay_alu instid0(VALU_DEP_4)
	v_ashrrev_i32_e32 v12, 31, v12
	v_lshl_add_u32 v10, v10, 1, v10
	v_xor_b32_e32 v11, vcc_lo, v11
	v_cmp_gt_i32_e32 vcc_lo, 0, v25
	v_not_b32_e32 v25, v24
	v_xor_b32_e32 v26, s0, v26
	v_cmp_gt_i32_e64 s0, 0, v24
	v_and_b32_e32 v11, exec_lo, v11
	v_xor_b32_e32 v12, vcc_lo, v12
	v_ashrrev_i32_e32 v24, 31, v25
	s_delay_alu instid0(VALU_DEP_3) | instskip(NEXT) | instid1(VALU_DEP_2)
	v_and_b32_e32 v11, v11, v26
	v_xor_b32_e32 v25, s0, v24
	s_and_b32 s0, s5, 0xffff
	s_delay_alu instid0(SALU_CYCLE_1) | instskip(NEXT) | instid1(VALU_DEP_3)
	v_mad_u64_u32 v[23:24], null, v0, s0, v[1:2]
	v_and_b32_e32 v11, v11, v12
	s_delay_alu instid0(VALU_DEP_1) | instskip(NEXT) | instid1(VALU_DEP_3)
	v_and_b32_e32 v11, v11, v25
	v_lshrrev_b32_e32 v12, 5, v23
	s_delay_alu instid0(VALU_DEP_2) | instskip(SKIP_1) | instid1(VALU_DEP_3)
	v_mbcnt_lo_u32_b32 v0, v11, 0
	v_cmp_ne_u32_e64 s0, 0, v11
	v_add_lshl_u32 v10, v10, v12, 2
	s_delay_alu instid0(VALU_DEP_3) | instskip(NEXT) | instid1(VALU_DEP_3)
	v_cmp_eq_u32_e32 vcc_lo, 0, v0
	s_and_b32 s1, s0, vcc_lo
	s_delay_alu instid0(SALU_CYCLE_1)
	s_and_saveexec_b32 s0, s1
	s_cbranch_execz .LBB60_4
; %bb.3:
	v_bcnt_u32_b32 v11, v11, 0
	ds_store_b32 v10, v11 offset:8
.LBB60_4:
	s_or_b32 exec_lo, exec_lo, s0
	v_cndmask_b32_e64 v24, 0, 1, s9
	s_and_not1_b32 vcc_lo, exec_lo, s9
	; wave barrier
	s_cbranch_vccnz .LBB60_6
; %bb.5:
	v_cmp_lt_i64_e32 vcc_lo, -1, v[8:9]
	v_ashrrev_i32_e32 v23, 31, v9
	s_mov_b32 s0, -1
	s_brev_b32 s1, -2
	s_delay_alu instid0(VALU_DEP_1) | instskip(SKIP_1) | instid1(VALU_DEP_1)
	v_xor_b32_e32 v8, v23, v8
	v_cndmask_b32_e64 v11, -1, 0x80000000, vcc_lo
	v_xor_b32_e32 v9, v11, v9
	s_delay_alu instid0(VALU_DEP_1) | instskip(SKIP_1) | instid1(SALU_CYCLE_1)
	v_cmp_ne_u64_e32 vcc_lo, s[0:1], v[8:9]
	s_and_b32 s0, s8, 63
	s_add_i32 s0, s0, s4
	s_delay_alu instid0(SALU_CYCLE_1) | instskip(SKIP_2) | instid1(VALU_DEP_1)
	s_sub_i32 s0, 64, s0
	v_cndmask_b32_e32 v9, 0x80000000, v9, vcc_lo
	v_cndmask_b32_e32 v8, 0, v8, vcc_lo
	v_lshlrev_b64 v[8:9], s0, v[8:9]
	s_sub_i32 s0, 64, s4
	s_delay_alu instid0(VALU_DEP_1) | instid1(SALU_CYCLE_1)
	v_lshrrev_b64 v[8:9], s0, v[8:9]
	s_branch .LBB60_7
.LBB60_6:
	v_mov_b32_e32 v8, 0
.LBB60_7:
	s_delay_alu instid0(VALU_DEP_1) | instskip(SKIP_2) | instid1(VALU_DEP_3)
	v_and_b32_e32 v9, 1, v8
	v_lshlrev_b32_e32 v11, 30, v8
	v_lshlrev_b32_e32 v25, 29, v8
	v_add_co_u32 v9, s0, v9, -1
	s_delay_alu instid0(VALU_DEP_1) | instskip(NEXT) | instid1(VALU_DEP_4)
	v_cndmask_b32_e64 v23, 0, 1, s0
	v_not_b32_e32 v26, v11
	v_cmp_gt_i32_e64 s0, 0, v11
	v_not_b32_e32 v11, v25
	s_delay_alu instid0(VALU_DEP_4) | instskip(SKIP_2) | instid1(VALU_DEP_4)
	v_cmp_ne_u32_e32 vcc_lo, 0, v23
	v_lshlrev_b32_e32 v23, 28, v8
	v_ashrrev_i32_e32 v26, 31, v26
	v_ashrrev_i32_e32 v11, 31, v11
	v_lshl_add_u32 v8, v8, 1, v8
	v_xor_b32_e32 v9, vcc_lo, v9
	v_cmp_gt_i32_e32 vcc_lo, 0, v25
	v_not_b32_e32 v25, v23
	v_xor_b32_e32 v26, s0, v26
	v_cmp_gt_i32_e64 s0, 0, v23
	v_and_b32_e32 v9, exec_lo, v9
	s_delay_alu instid0(VALU_DEP_4) | instskip(SKIP_2) | instid1(VALU_DEP_4)
	v_ashrrev_i32_e32 v23, 31, v25
	v_xor_b32_e32 v25, vcc_lo, v11
	v_add_lshl_u32 v11, v8, v12, 2
	v_and_b32_e32 v9, v9, v26
	s_delay_alu instid0(VALU_DEP_4) | instskip(SKIP_2) | instid1(VALU_DEP_1)
	v_xor_b32_e32 v23, s0, v23
	ds_load_b32 v8, v11 offset:8
	v_and_b32_e32 v9, v9, v25
	; wave barrier
	v_and_b32_e32 v23, v9, v23
	s_delay_alu instid0(VALU_DEP_1) | instskip(SKIP_1) | instid1(VALU_DEP_2)
	v_mbcnt_lo_u32_b32 v9, v23, 0
	v_cmp_ne_u32_e64 s0, 0, v23
	v_cmp_eq_u32_e32 vcc_lo, 0, v9
	s_delay_alu instid0(VALU_DEP_2) | instskip(NEXT) | instid1(SALU_CYCLE_1)
	s_and_b32 s1, s0, vcc_lo
	s_and_saveexec_b32 s0, s1
	s_cbranch_execz .LBB60_9
; %bb.8:
	s_waitcnt lgkmcnt(0)
	v_bcnt_u32_b32 v23, v23, v8
	ds_store_b32 v11, v23 offset:8
.LBB60_9:
	s_or_b32 exec_lo, exec_lo, s0
	v_cmp_ne_u32_e32 vcc_lo, 1, v24
	; wave barrier
	s_cbranch_vccnz .LBB60_11
; %bb.10:
	v_cmp_lt_i64_e32 vcc_lo, -1, v[6:7]
	v_ashrrev_i32_e32 v25, 31, v7
	s_mov_b32 s0, -1
	s_brev_b32 s1, -2
	s_delay_alu instid0(VALU_DEP_1) | instskip(SKIP_1) | instid1(VALU_DEP_1)
	v_xor_b32_e32 v6, v25, v6
	v_cndmask_b32_e64 v23, -1, 0x80000000, vcc_lo
	v_xor_b32_e32 v7, v23, v7
	s_delay_alu instid0(VALU_DEP_1) | instskip(SKIP_1) | instid1(SALU_CYCLE_1)
	v_cmp_ne_u64_e32 vcc_lo, s[0:1], v[6:7]
	s_and_b32 s0, s8, 63
	s_add_i32 s0, s0, s4
	s_delay_alu instid0(SALU_CYCLE_1) | instskip(SKIP_2) | instid1(VALU_DEP_1)
	s_sub_i32 s0, 64, s0
	v_cndmask_b32_e32 v7, 0x80000000, v7, vcc_lo
	v_cndmask_b32_e32 v6, 0, v6, vcc_lo
	v_lshlrev_b64 v[6:7], s0, v[6:7]
	s_sub_i32 s0, 64, s4
	s_delay_alu instid0(VALU_DEP_1) | instid1(SALU_CYCLE_1)
	v_lshrrev_b64 v[6:7], s0, v[6:7]
	s_branch .LBB60_12
.LBB60_11:
	v_mov_b32_e32 v6, 0
.LBB60_12:
	s_delay_alu instid0(VALU_DEP_1) | instskip(SKIP_2) | instid1(VALU_DEP_3)
	v_and_b32_e32 v7, 1, v6
	v_lshlrev_b32_e32 v23, 30, v6
	v_lshlrev_b32_e32 v26, 29, v6
	v_add_co_u32 v7, s0, v7, -1
	s_delay_alu instid0(VALU_DEP_1) | instskip(NEXT) | instid1(VALU_DEP_4)
	v_cndmask_b32_e64 v25, 0, 1, s0
	v_not_b32_e32 v27, v23
	v_cmp_gt_i32_e64 s0, 0, v23
	v_not_b32_e32 v23, v26
	s_delay_alu instid0(VALU_DEP_4) | instskip(SKIP_2) | instid1(VALU_DEP_4)
	v_cmp_ne_u32_e32 vcc_lo, 0, v25
	v_lshlrev_b32_e32 v25, 28, v6
	v_ashrrev_i32_e32 v27, 31, v27
	v_ashrrev_i32_e32 v23, 31, v23
	v_lshl_add_u32 v6, v6, 1, v6
	v_xor_b32_e32 v7, vcc_lo, v7
	v_cmp_gt_i32_e32 vcc_lo, 0, v26
	v_not_b32_e32 v26, v25
	v_xor_b32_e32 v27, s0, v27
	v_cmp_gt_i32_e64 s0, 0, v25
	v_and_b32_e32 v7, exec_lo, v7
	s_delay_alu instid0(VALU_DEP_4) | instskip(SKIP_2) | instid1(VALU_DEP_4)
	v_ashrrev_i32_e32 v25, 31, v26
	v_xor_b32_e32 v26, vcc_lo, v23
	v_add_lshl_u32 v23, v6, v12, 2
	v_and_b32_e32 v7, v7, v27
	s_delay_alu instid0(VALU_DEP_4) | instskip(SKIP_2) | instid1(VALU_DEP_1)
	v_xor_b32_e32 v25, s0, v25
	ds_load_b32 v6, v23 offset:8
	v_and_b32_e32 v7, v7, v26
	; wave barrier
	v_and_b32_e32 v25, v7, v25
	s_delay_alu instid0(VALU_DEP_1) | instskip(SKIP_1) | instid1(VALU_DEP_2)
	v_mbcnt_lo_u32_b32 v7, v25, 0
	v_cmp_ne_u32_e64 s0, 0, v25
	v_cmp_eq_u32_e32 vcc_lo, 0, v7
	s_delay_alu instid0(VALU_DEP_2) | instskip(NEXT) | instid1(SALU_CYCLE_1)
	s_and_b32 s1, s0, vcc_lo
	s_and_saveexec_b32 s0, s1
	s_cbranch_execz .LBB60_14
; %bb.13:
	s_waitcnt lgkmcnt(0)
	v_bcnt_u32_b32 v25, v25, v6
	ds_store_b32 v23, v25 offset:8
.LBB60_14:
	s_or_b32 exec_lo, exec_lo, s0
	v_cmp_ne_u32_e32 vcc_lo, 1, v24
	; wave barrier
	s_cbranch_vccnz .LBB60_16
; %bb.15:
	v_cmp_lt_i64_e32 vcc_lo, -1, v[4:5]
	v_ashrrev_i32_e32 v26, 31, v5
	s_mov_b32 s0, -1
	s_brev_b32 s1, -2
	s_delay_alu instid0(VALU_DEP_1) | instskip(SKIP_1) | instid1(VALU_DEP_1)
	v_xor_b32_e32 v4, v26, v4
	v_cndmask_b32_e64 v25, -1, 0x80000000, vcc_lo
	v_xor_b32_e32 v5, v25, v5
	s_delay_alu instid0(VALU_DEP_1) | instskip(SKIP_1) | instid1(SALU_CYCLE_1)
	v_cmp_ne_u64_e32 vcc_lo, s[0:1], v[4:5]
	s_and_b32 s0, s8, 63
	s_add_i32 s0, s0, s4
	s_delay_alu instid0(SALU_CYCLE_1) | instskip(SKIP_2) | instid1(VALU_DEP_1)
	s_sub_i32 s0, 64, s0
	v_cndmask_b32_e32 v5, 0x80000000, v5, vcc_lo
	v_cndmask_b32_e32 v4, 0, v4, vcc_lo
	v_lshlrev_b64 v[4:5], s0, v[4:5]
	s_sub_i32 s0, 64, s4
	s_delay_alu instid0(VALU_DEP_1) | instid1(SALU_CYCLE_1)
	v_lshrrev_b64 v[4:5], s0, v[4:5]
	s_branch .LBB60_17
.LBB60_16:
	v_mov_b32_e32 v4, 0
.LBB60_17:
	s_delay_alu instid0(VALU_DEP_1) | instskip(SKIP_2) | instid1(VALU_DEP_3)
	v_and_b32_e32 v5, 1, v4
	v_lshlrev_b32_e32 v25, 30, v4
	v_lshlrev_b32_e32 v27, 29, v4
	v_add_co_u32 v5, s0, v5, -1
	s_delay_alu instid0(VALU_DEP_1) | instskip(NEXT) | instid1(VALU_DEP_4)
	v_cndmask_b32_e64 v26, 0, 1, s0
	v_not_b32_e32 v28, v25
	v_cmp_gt_i32_e64 s0, 0, v25
	v_not_b32_e32 v25, v27
	s_delay_alu instid0(VALU_DEP_4) | instskip(SKIP_2) | instid1(VALU_DEP_4)
	v_cmp_ne_u32_e32 vcc_lo, 0, v26
	v_lshlrev_b32_e32 v26, 28, v4
	v_ashrrev_i32_e32 v28, 31, v28
	v_ashrrev_i32_e32 v25, 31, v25
	v_lshl_add_u32 v4, v4, 1, v4
	v_xor_b32_e32 v5, vcc_lo, v5
	v_cmp_gt_i32_e32 vcc_lo, 0, v27
	v_not_b32_e32 v27, v26
	v_xor_b32_e32 v28, s0, v28
	v_cmp_gt_i32_e64 s0, 0, v26
	v_and_b32_e32 v5, exec_lo, v5
	s_delay_alu instid0(VALU_DEP_4) | instskip(SKIP_2) | instid1(VALU_DEP_4)
	v_ashrrev_i32_e32 v26, 31, v27
	v_xor_b32_e32 v27, vcc_lo, v25
	v_add_lshl_u32 v25, v4, v12, 2
	v_and_b32_e32 v5, v5, v28
	s_delay_alu instid0(VALU_DEP_4) | instskip(SKIP_2) | instid1(VALU_DEP_1)
	v_xor_b32_e32 v26, s0, v26
	ds_load_b32 v4, v25 offset:8
	v_and_b32_e32 v5, v5, v27
	; wave barrier
	v_and_b32_e32 v26, v5, v26
	s_delay_alu instid0(VALU_DEP_1) | instskip(SKIP_1) | instid1(VALU_DEP_2)
	v_mbcnt_lo_u32_b32 v5, v26, 0
	v_cmp_ne_u32_e64 s0, 0, v26
	v_cmp_eq_u32_e32 vcc_lo, 0, v5
	s_delay_alu instid0(VALU_DEP_2) | instskip(NEXT) | instid1(SALU_CYCLE_1)
	s_and_b32 s1, s0, vcc_lo
	s_and_saveexec_b32 s0, s1
	s_cbranch_execz .LBB60_19
; %bb.18:
	s_waitcnt lgkmcnt(0)
	v_bcnt_u32_b32 v26, v26, v4
	ds_store_b32 v25, v26 offset:8
.LBB60_19:
	s_or_b32 exec_lo, exec_lo, s0
	v_cmp_ne_u32_e32 vcc_lo, 1, v24
	; wave barrier
	s_cbranch_vccnz .LBB60_21
; %bb.20:
	v_cmp_lt_i64_e32 vcc_lo, -1, v[2:3]
	v_ashrrev_i32_e32 v26, 31, v3
	s_mov_b32 s0, -1
	s_brev_b32 s1, -2
	s_delay_alu instid0(VALU_DEP_1) | instskip(SKIP_1) | instid1(VALU_DEP_1)
	v_xor_b32_e32 v2, v26, v2
	v_cndmask_b32_e64 v24, -1, 0x80000000, vcc_lo
	v_xor_b32_e32 v3, v24, v3
	s_delay_alu instid0(VALU_DEP_1) | instskip(SKIP_1) | instid1(SALU_CYCLE_1)
	v_cmp_ne_u64_e32 vcc_lo, s[0:1], v[2:3]
	s_and_b32 s0, s8, 63
	s_add_i32 s0, s0, s4
	s_delay_alu instid0(SALU_CYCLE_1) | instskip(SKIP_2) | instid1(VALU_DEP_1)
	s_sub_i32 s0, 64, s0
	v_cndmask_b32_e32 v3, 0x80000000, v3, vcc_lo
	v_cndmask_b32_e32 v2, 0, v2, vcc_lo
	v_lshlrev_b64 v[2:3], s0, v[2:3]
	s_sub_i32 s0, 64, s4
	s_delay_alu instid0(VALU_DEP_1) | instid1(SALU_CYCLE_1)
	v_lshrrev_b64 v[2:3], s0, v[2:3]
	s_branch .LBB60_22
.LBB60_21:
	v_mov_b32_e32 v2, 0
.LBB60_22:
	s_delay_alu instid0(VALU_DEP_1) | instskip(SKIP_2) | instid1(VALU_DEP_3)
	v_and_b32_e32 v3, 1, v2
	v_lshlrev_b32_e32 v24, 30, v2
	v_lshlrev_b32_e32 v27, 29, v2
	v_add_co_u32 v3, s0, v3, -1
	s_delay_alu instid0(VALU_DEP_1) | instskip(NEXT) | instid1(VALU_DEP_4)
	v_cndmask_b32_e64 v26, 0, 1, s0
	v_not_b32_e32 v28, v24
	v_cmp_gt_i32_e64 s0, 0, v24
	v_not_b32_e32 v24, v27
	s_delay_alu instid0(VALU_DEP_4) | instskip(SKIP_2) | instid1(VALU_DEP_4)
	v_cmp_ne_u32_e32 vcc_lo, 0, v26
	v_lshlrev_b32_e32 v26, 28, v2
	v_ashrrev_i32_e32 v28, 31, v28
	v_ashrrev_i32_e32 v24, 31, v24
	v_lshl_add_u32 v2, v2, 1, v2
	v_xor_b32_e32 v3, vcc_lo, v3
	v_cmp_gt_i32_e32 vcc_lo, 0, v27
	v_not_b32_e32 v27, v26
	v_xor_b32_e32 v28, s0, v28
	v_cmp_gt_i32_e64 s0, 0, v26
	v_and_b32_e32 v3, exec_lo, v3
	v_xor_b32_e32 v24, vcc_lo, v24
	v_ashrrev_i32_e32 v27, 31, v27
	v_add_lshl_u32 v26, v2, v12, 2
	s_delay_alu instid0(VALU_DEP_4) | instskip(NEXT) | instid1(VALU_DEP_3)
	v_and_b32_e32 v3, v3, v28
	v_xor_b32_e32 v2, s0, v27
	ds_load_b32 v12, v26 offset:8
	v_and_b32_e32 v3, v3, v24
	; wave barrier
	s_delay_alu instid0(VALU_DEP_1) | instskip(NEXT) | instid1(VALU_DEP_1)
	v_and_b32_e32 v2, v3, v2
	v_mbcnt_lo_u32_b32 v24, v2, 0
	v_cmp_ne_u32_e64 s0, 0, v2
	s_delay_alu instid0(VALU_DEP_2) | instskip(NEXT) | instid1(VALU_DEP_2)
	v_cmp_eq_u32_e32 vcc_lo, 0, v24
	s_and_b32 s1, s0, vcc_lo
	s_delay_alu instid0(SALU_CYCLE_1)
	s_and_saveexec_b32 s0, s1
	s_cbranch_execz .LBB60_24
; %bb.23:
	s_waitcnt lgkmcnt(0)
	v_bcnt_u32_b32 v2, v2, v12
	ds_store_b32 v26, v2 offset:8
.LBB60_24:
	s_or_b32 exec_lo, exec_lo, s0
	; wave barrier
	s_waitcnt lgkmcnt(0)
	s_barrier
	buffer_gl0_inv
	ds_load_2addr_b32 v[2:3], v22 offset0:2 offset1:3
	v_and_b32_e32 v27, 15, v21
	s_mov_b32 s1, exec_lo
	s_delay_alu instid0(VALU_DEP_1) | instskip(SKIP_2) | instid1(VALU_DEP_1)
	v_cmp_ne_u32_e32 vcc_lo, 0, v27
	s_waitcnt lgkmcnt(0)
	v_add_nc_u32_e32 v3, v3, v2
	v_mov_b32_dpp v28, v3 row_shr:1 row_mask:0xf bank_mask:0xf
	s_delay_alu instid0(VALU_DEP_1) | instskip(SKIP_1) | instid1(VALU_DEP_2)
	v_cndmask_b32_e32 v28, 0, v28, vcc_lo
	v_cmp_lt_u32_e32 vcc_lo, 1, v27
	v_add_nc_u32_e32 v3, v28, v3
	s_delay_alu instid0(VALU_DEP_1) | instskip(NEXT) | instid1(VALU_DEP_1)
	v_mov_b32_dpp v28, v3 row_shr:2 row_mask:0xf bank_mask:0xf
	v_cndmask_b32_e32 v28, 0, v28, vcc_lo
	v_cmp_lt_u32_e32 vcc_lo, 3, v27
	s_delay_alu instid0(VALU_DEP_2) | instskip(NEXT) | instid1(VALU_DEP_1)
	v_add_nc_u32_e32 v3, v3, v28
	v_mov_b32_dpp v28, v3 row_shr:4 row_mask:0xf bank_mask:0xf
	s_delay_alu instid0(VALU_DEP_1) | instskip(SKIP_1) | instid1(VALU_DEP_2)
	v_cndmask_b32_e32 v28, 0, v28, vcc_lo
	v_cmp_lt_u32_e32 vcc_lo, 7, v27
	v_add_nc_u32_e32 v3, v3, v28
	s_delay_alu instid0(VALU_DEP_1) | instskip(NEXT) | instid1(VALU_DEP_1)
	v_mov_b32_dpp v28, v3 row_shr:8 row_mask:0xf bank_mask:0xf
	v_cndmask_b32_e32 v27, 0, v28, vcc_lo
	v_bfe_i32 v28, v21, 4, 1
	v_cmp_gt_u32_e32 vcc_lo, 32, v1
	s_delay_alu instid0(VALU_DEP_3)
	v_add_nc_u32_e32 v3, v3, v27
	ds_swizzle_b32 v27, v3 offset:swizzle(BROADCAST,32,15)
	s_waitcnt lgkmcnt(0)
	v_and_b32_e32 v27, v28, v27
	v_cndmask_b32_e64 v28, 32, 31, vcc_lo
	v_cmp_lt_u32_e32 vcc_lo, 31, v1
	s_delay_alu instid0(VALU_DEP_3) | instskip(NEXT) | instid1(VALU_DEP_3)
	v_add_nc_u32_e32 v3, v3, v27
	v_cmpx_eq_u32_e64 v28, v1
	s_cbranch_execz .LBB60_26
; %bb.25:
	v_lshlrev_b32_e32 v27, 2, v20
	ds_store_b32 v27, v3
.LBB60_26:
	s_or_b32 exec_lo, exec_lo, s1
	s_delay_alu instid0(SALU_CYCLE_1)
	s_mov_b32 s1, exec_lo
	s_waitcnt lgkmcnt(0)
	s_barrier
	buffer_gl0_inv
	v_cmpx_gt_u32_e32 2, v1
	s_cbranch_execz .LBB60_28
; %bb.27:
	v_lshlrev_b32_e32 v27, 2, v1
	v_bfe_i32 v29, v21, 0, 1
	ds_load_b32 v28, v27
	s_waitcnt lgkmcnt(0)
	v_mov_b32_dpp v30, v28 row_shr:1 row_mask:0xf bank_mask:0xf
	s_delay_alu instid0(VALU_DEP_1) | instskip(NEXT) | instid1(VALU_DEP_1)
	v_and_b32_e32 v29, v29, v30
	v_add_nc_u32_e32 v28, v29, v28
	ds_store_b32 v27, v28
.LBB60_28:
	s_or_b32 exec_lo, exec_lo, s1
	v_mov_b32_e32 v27, 0
	s_waitcnt lgkmcnt(0)
	s_barrier
	buffer_gl0_inv
	s_and_saveexec_b32 s0, vcc_lo
	s_cbranch_execz .LBB60_30
; %bb.29:
	v_lshl_add_u32 v20, v20, 2, -4
	ds_load_b32 v27, v20
.LBB60_30:
	s_or_b32 exec_lo, exec_lo, s0
	v_add_nc_u32_e32 v20, -1, v21
	v_lshlrev_b32_e32 v19, 2, v19
	v_lshlrev_b32_e32 v14, 2, v14
	s_lshl_b64 s[0:1], s[2:3], 2
	s_waitcnt lgkmcnt(0)
	v_add_nc_u32_e32 v3, v27, v3
	v_cmp_gt_i32_e32 vcc_lo, 0, v20
	v_lshl_add_u32 v15, v15, 2, v19
	v_lshl_add_u32 v16, v16, 2, v19
	;; [unrolled: 1-line block ×4, first 2 shown]
	v_cndmask_b32_e32 v20, v20, v21, vcc_lo
	v_cmp_eq_u32_e32 vcc_lo, 0, v21
	s_add_u32 s0, s6, s0
	s_addc_u32 s1, s7, s1
	s_delay_alu instid0(VALU_DEP_2) | instskip(SKIP_4) | instid1(VALU_DEP_2)
	v_lshlrev_b32_e32 v20, 2, v20
	ds_bpermute_b32 v3, v20, v3
	s_waitcnt lgkmcnt(0)
	v_cndmask_b32_e32 v3, v3, v27, vcc_lo
	v_cmp_ne_u32_e32 vcc_lo, 0, v1
	v_cndmask_b32_e32 v1, 0, v3, vcc_lo
	s_delay_alu instid0(VALU_DEP_1)
	v_add_nc_u32_e32 v2, v1, v2
	ds_store_2addr_b32 v22, v1, v2 offset0:2 offset1:3
	s_waitcnt lgkmcnt(0)
	s_barrier
	buffer_gl0_inv
	ds_load_b32 v1, v10 offset:8
	ds_load_b32 v2, v11 offset:8
	;; [unrolled: 1-line block ×5, first 2 shown]
	s_waitcnt lgkmcnt(0)
	s_barrier
	buffer_gl0_inv
	v_add_nc_u32_e32 v0, v1, v0
	v_add3_u32 v1, v9, v8, v2
	v_add3_u32 v2, v7, v6, v3
	;; [unrolled: 1-line block ×4, first 2 shown]
	ds_store_b32 v19, v0
	ds_store_b32 v15, v1
	;; [unrolled: 1-line block ×5, first 2 shown]
	; wave barrier
	ds_load_2addr_b32 v[0:1], v14 offset1:1
	ds_load_2addr_b32 v[2:3], v14 offset0:2 offset1:3
	ds_load_b32 v4, v14 offset:16
	v_lshlrev_b32_e32 v5, 2, v13
	s_waitcnt lgkmcnt(1)
	global_store_b128 v5, v[0:3], s[0:1]
	s_waitcnt lgkmcnt(0)
	global_store_b32 v5, v4, s[0:1] offset:16
	s_nop 0
	s_sendmsg sendmsg(MSG_DEALLOC_VGPRS)
	s_endpgm
	.section	.rodata,"a",@progbits
	.p2align	6, 0x0
	.amdhsa_kernel _Z11rank_kernelILj33ELj5ELj4ELb0EL18RadixRankAlgorithm2EdEvPKT4_Pijj
		.amdhsa_group_segment_fixed_size 1328
		.amdhsa_private_segment_fixed_size 0
		.amdhsa_kernarg_size 280
		.amdhsa_user_sgpr_count 15
		.amdhsa_user_sgpr_dispatch_ptr 0
		.amdhsa_user_sgpr_queue_ptr 0
		.amdhsa_user_sgpr_kernarg_segment_ptr 1
		.amdhsa_user_sgpr_dispatch_id 0
		.amdhsa_user_sgpr_private_segment_size 0
		.amdhsa_wavefront_size32 1
		.amdhsa_uses_dynamic_stack 0
		.amdhsa_enable_private_segment 0
		.amdhsa_system_sgpr_workgroup_id_x 1
		.amdhsa_system_sgpr_workgroup_id_y 0
		.amdhsa_system_sgpr_workgroup_id_z 0
		.amdhsa_system_sgpr_workgroup_info 0
		.amdhsa_system_vgpr_workitem_id 2
		.amdhsa_next_free_vgpr 31
		.amdhsa_next_free_sgpr 16
		.amdhsa_reserve_vcc 1
		.amdhsa_float_round_mode_32 0
		.amdhsa_float_round_mode_16_64 0
		.amdhsa_float_denorm_mode_32 3
		.amdhsa_float_denorm_mode_16_64 3
		.amdhsa_dx10_clamp 1
		.amdhsa_ieee_mode 1
		.amdhsa_fp16_overflow 0
		.amdhsa_workgroup_processor_mode 1
		.amdhsa_memory_ordered 1
		.amdhsa_forward_progress 0
		.amdhsa_shared_vgpr_count 0
		.amdhsa_exception_fp_ieee_invalid_op 0
		.amdhsa_exception_fp_denorm_src 0
		.amdhsa_exception_fp_ieee_div_zero 0
		.amdhsa_exception_fp_ieee_overflow 0
		.amdhsa_exception_fp_ieee_underflow 0
		.amdhsa_exception_fp_ieee_inexact 0
		.amdhsa_exception_int_div_zero 0
	.end_amdhsa_kernel
	.section	.text._Z11rank_kernelILj33ELj5ELj4ELb0EL18RadixRankAlgorithm2EdEvPKT4_Pijj,"axG",@progbits,_Z11rank_kernelILj33ELj5ELj4ELb0EL18RadixRankAlgorithm2EdEvPKT4_Pijj,comdat
.Lfunc_end60:
	.size	_Z11rank_kernelILj33ELj5ELj4ELb0EL18RadixRankAlgorithm2EdEvPKT4_Pijj, .Lfunc_end60-_Z11rank_kernelILj33ELj5ELj4ELb0EL18RadixRankAlgorithm2EdEvPKT4_Pijj
                                        ; -- End function
	.section	.AMDGPU.csdata,"",@progbits
; Kernel info:
; codeLenInByte = 2788
; NumSgprs: 18
; NumVgprs: 31
; ScratchSize: 0
; MemoryBound: 0
; FloatMode: 240
; IeeeMode: 1
; LDSByteSize: 1328 bytes/workgroup (compile time only)
; SGPRBlocks: 2
; VGPRBlocks: 3
; NumSGPRsForWavesPerEU: 18
; NumVGPRsForWavesPerEU: 31
; Occupancy: 16
; WaveLimiterHint : 0
; COMPUTE_PGM_RSRC2:SCRATCH_EN: 0
; COMPUTE_PGM_RSRC2:USER_SGPR: 15
; COMPUTE_PGM_RSRC2:TRAP_HANDLER: 0
; COMPUTE_PGM_RSRC2:TGID_X_EN: 1
; COMPUTE_PGM_RSRC2:TGID_Y_EN: 0
; COMPUTE_PGM_RSRC2:TGID_Z_EN: 0
; COMPUTE_PGM_RSRC2:TIDIG_COMP_CNT: 2
	.section	.text._Z11rank_kernelILj512ELj2ELj4ELb0EL18RadixRankAlgorithm2EfEvPKT4_Pijj,"axG",@progbits,_Z11rank_kernelILj512ELj2ELj4ELb0EL18RadixRankAlgorithm2EfEvPKT4_Pijj,comdat
	.protected	_Z11rank_kernelILj512ELj2ELj4ELb0EL18RadixRankAlgorithm2EfEvPKT4_Pijj ; -- Begin function _Z11rank_kernelILj512ELj2ELj4ELb0EL18RadixRankAlgorithm2EfEvPKT4_Pijj
	.globl	_Z11rank_kernelILj512ELj2ELj4ELb0EL18RadixRankAlgorithm2EfEvPKT4_Pijj
	.p2align	8
	.type	_Z11rank_kernelILj512ELj2ELj4ELb0EL18RadixRankAlgorithm2EfEvPKT4_Pijj,@function
_Z11rank_kernelILj512ELj2ELj4ELb0EL18RadixRankAlgorithm2EfEvPKT4_Pijj: ; @_Z11rank_kernelILj512ELj2ELj4ELb0EL18RadixRankAlgorithm2EfEvPKT4_Pijj
; %bb.0:
	s_load_b128 s[4:7], s[0:1], 0x0
	v_and_b32_e32 v1, 0x3ff, v0
	s_mov_b32 s3, 0
	s_lshl_b32 s2, s15, 10
	v_mbcnt_lo_u32_b32 v4, -1, 0
	s_lshl_b64 s[8:9], s[2:3], 2
	v_lshlrev_b32_e32 v2, 3, v1
	s_load_b64 s[2:3], s[0:1], 0x10
	v_and_b32_e32 v7, 0x1e0, v1
	s_load_b32 s0, s[0:1], 0x24
	v_bfe_u32 v12, v0, 10, 10
	v_bfe_u32 v0, v0, 20, 10
	s_delay_alu instid0(VALU_DEP_3) | instskip(NEXT) | instid1(VALU_DEP_1)
	v_or_b32_e32 v3, v4, v7
	v_lshlrev_b32_e32 v6, 1, v3
	v_bfe_u32 v3, v3, 4, 27
	s_waitcnt lgkmcnt(0)
	s_add_u32 s4, s4, s8
	s_addc_u32 s5, s5, s9
	global_load_b64 v[8:9], v2, s[4:5]
	v_lshlrev_b32_e32 v2, 1, v1
	v_add_lshl_u32 v3, v3, v6, 2
	s_lshr_b32 s4, s0, 16
	s_delay_alu instid0(VALU_DEP_2)
	v_and_b32_e32 v5, 0x3c0, v2
	s_and_b32 s5, s0, 0xffff
	s_and_b32 s0, s3, 31
	v_mad_u32_u24 v0, v0, s4, v12
	s_cmp_eq_u32 s0, 0
	v_or_b32_e32 v10, v4, v5
	v_lshrrev_b32_e32 v5, 5, v5
	s_cselect_b32 s1, -1, 0
	s_and_b32 s2, s2, 31
	s_sub_i32 s3, 32, s0
	v_or_b32_e32 v6, 32, v10
	v_add_lshl_u32 v5, v5, v10, 2
	s_add_i32 s2, s2, s0
	s_delay_alu instid0(SALU_CYCLE_1) | instskip(SKIP_4) | instid1(VALU_DEP_1)
	s_sub_i32 s2, 32, s2
	s_waitcnt vmcnt(0)
	ds_store_2addr_b32 v3, v8, v9 offset1:1
	; wave barrier
	ds_load_b32 v8, v5
	v_lshrrev_b32_e32 v9, 5, v6
	v_add_lshl_u32 v6, v9, v6, 2
	ds_load_b32 v10, v6
	s_waitcnt lgkmcnt(0)
	s_barrier
	buffer_gl0_inv
	v_cmp_lt_i32_e32 vcc_lo, -1, v8
	v_cndmask_b32_e64 v9, -1, 0x80000000, vcc_lo
	s_delay_alu instid0(VALU_DEP_1) | instskip(NEXT) | instid1(VALU_DEP_1)
	v_xor_b32_e32 v8, v9, v8
	v_cmp_ne_u32_e32 vcc_lo, 0x7fffffff, v8
	v_cndmask_b32_e32 v8, 0x80000000, v8, vcc_lo
	s_delay_alu instid0(VALU_DEP_1) | instskip(NEXT) | instid1(VALU_DEP_1)
	v_lshlrev_b32_e32 v8, s2, v8
	v_lshrrev_b32_e32 v8, s3, v8
	s_delay_alu instid0(VALU_DEP_1) | instskip(NEXT) | instid1(VALU_DEP_1)
	v_cndmask_b32_e64 v13, v8, 0, s1
	v_lshlrev_b32_e32 v9, 30, v13
	v_and_b32_e32 v8, 1, v13
	v_lshlrev_b32_e32 v14, 29, v13
	s_delay_alu instid0(VALU_DEP_3) | instskip(NEXT) | instid1(VALU_DEP_3)
	v_not_b32_e32 v15, v9
	v_add_co_u32 v8, s0, v8, -1
	s_delay_alu instid0(VALU_DEP_1) | instskip(SKIP_3) | instid1(VALU_DEP_4)
	v_cndmask_b32_e64 v11, 0, 1, s0
	v_cmp_gt_i32_e64 s0, 0, v9
	v_not_b32_e32 v9, v14
	v_ashrrev_i32_e32 v15, 31, v15
	v_cmp_ne_u32_e32 vcc_lo, 0, v11
	v_lshlrev_b32_e32 v11, 28, v13
	s_delay_alu instid0(VALU_DEP_4) | instskip(NEXT) | instid1(VALU_DEP_4)
	v_ashrrev_i32_e32 v9, 31, v9
	v_xor_b32_e32 v15, s0, v15
	v_xor_b32_e32 v8, vcc_lo, v8
	v_cmp_gt_i32_e32 vcc_lo, 0, v14
	v_not_b32_e32 v14, v11
	v_cmp_gt_i32_e64 s0, 0, v11
	s_delay_alu instid0(VALU_DEP_4) | instskip(SKIP_1) | instid1(VALU_DEP_4)
	v_and_b32_e32 v8, exec_lo, v8
	v_xor_b32_e32 v12, vcc_lo, v9
	v_ashrrev_i32_e32 v11, 31, v14
	s_delay_alu instid0(VALU_DEP_3) | instskip(SKIP_1) | instid1(VALU_DEP_3)
	v_and_b32_e32 v14, v8, v15
	v_mad_u64_u32 v[8:9], null, v0, s5, v[1:2]
	v_xor_b32_e32 v0, s0, v11
	s_delay_alu instid0(VALU_DEP_3) | instskip(NEXT) | instid1(VALU_DEP_3)
	v_dual_mov_b32 v14, 0 :: v_dual_and_b32 v9, v14, v12
	v_lshrrev_b32_e32 v11, 5, v8
	s_delay_alu instid0(VALU_DEP_2) | instskip(SKIP_2) | instid1(VALU_DEP_3)
	v_and_b32_e32 v12, v9, v0
	v_lshl_add_u32 v9, v13, 4, v13
	v_lshlrev_b32_e32 v0, 2, v1
	v_mbcnt_lo_u32_b32 v8, v12, 0
	v_cmp_ne_u32_e64 s0, 0, v12
	s_delay_alu instid0(VALU_DEP_4)
	v_add_lshl_u32 v9, v11, v9, 2
	ds_store_b32 v0, v14 offset:64
	s_waitcnt lgkmcnt(0)
	v_cmp_eq_u32_e32 vcc_lo, 0, v8
	s_barrier
	buffer_gl0_inv
	; wave barrier
	s_and_b32 s4, s0, vcc_lo
	s_delay_alu instid0(SALU_CYCLE_1)
	s_and_saveexec_b32 s0, s4
	s_cbranch_execz .LBB61_2
; %bb.1:
	v_bcnt_u32_b32 v12, v12, 0
	ds_store_b32 v9, v12 offset:64
.LBB61_2:
	s_or_b32 exec_lo, exec_lo, s0
	v_cmp_lt_i32_e32 vcc_lo, -1, v10
	; wave barrier
	v_cndmask_b32_e64 v12, -1, 0x80000000, vcc_lo
	s_delay_alu instid0(VALU_DEP_1) | instskip(NEXT) | instid1(VALU_DEP_1)
	v_xor_b32_e32 v10, v12, v10
	v_cmp_ne_u32_e32 vcc_lo, 0x7fffffff, v10
	v_cndmask_b32_e32 v10, 0x80000000, v10, vcc_lo
	s_delay_alu instid0(VALU_DEP_1) | instskip(NEXT) | instid1(VALU_DEP_1)
	v_lshlrev_b32_e32 v10, s2, v10
	v_lshrrev_b32_e32 v10, s3, v10
	s_delay_alu instid0(VALU_DEP_1) | instskip(NEXT) | instid1(VALU_DEP_1)
	v_cndmask_b32_e64 v10, v10, 0, s1
	v_and_b32_e32 v12, 1, v10
	v_lshlrev_b32_e32 v13, 30, v10
	v_lshlrev_b32_e32 v15, 29, v10
	s_delay_alu instid0(VALU_DEP_3) | instskip(NEXT) | instid1(VALU_DEP_1)
	v_add_co_u32 v12, s0, v12, -1
	v_cndmask_b32_e64 v14, 0, 1, s0
	s_delay_alu instid0(VALU_DEP_4) | instskip(SKIP_2) | instid1(VALU_DEP_4)
	v_not_b32_e32 v16, v13
	v_cmp_gt_i32_e64 s0, 0, v13
	v_not_b32_e32 v13, v15
	v_cmp_ne_u32_e32 vcc_lo, 0, v14
	v_lshlrev_b32_e32 v14, 28, v10
	v_ashrrev_i32_e32 v16, 31, v16
	s_delay_alu instid0(VALU_DEP_4)
	v_ashrrev_i32_e32 v13, 31, v13
	v_lshl_add_u32 v10, v10, 4, v10
	v_xor_b32_e32 v12, vcc_lo, v12
	v_cmp_gt_i32_e32 vcc_lo, 0, v15
	v_not_b32_e32 v15, v14
	v_xor_b32_e32 v16, s0, v16
	v_cmp_gt_i32_e64 s0, 0, v14
	v_and_b32_e32 v12, exec_lo, v12
	v_xor_b32_e32 v13, vcc_lo, v13
	v_ashrrev_i32_e32 v14, 31, v15
	v_add_lshl_u32 v10, v11, v10, 2
	s_delay_alu instid0(VALU_DEP_4) | instskip(NEXT) | instid1(VALU_DEP_3)
	v_and_b32_e32 v12, v12, v16
	v_xor_b32_e32 v14, s0, v14
	ds_load_b32 v11, v10 offset:64
	v_and_b32_e32 v12, v12, v13
	; wave barrier
	s_delay_alu instid0(VALU_DEP_1) | instskip(NEXT) | instid1(VALU_DEP_1)
	v_and_b32_e32 v13, v12, v14
	v_mbcnt_lo_u32_b32 v12, v13, 0
	v_cmp_ne_u32_e64 s0, 0, v13
	s_delay_alu instid0(VALU_DEP_2) | instskip(NEXT) | instid1(VALU_DEP_2)
	v_cmp_eq_u32_e32 vcc_lo, 0, v12
	s_and_b32 s1, s0, vcc_lo
	s_delay_alu instid0(SALU_CYCLE_1)
	s_and_saveexec_b32 s0, s1
	s_cbranch_execz .LBB61_4
; %bb.3:
	s_waitcnt lgkmcnt(0)
	v_bcnt_u32_b32 v13, v13, v11
	ds_store_b32 v10, v13 offset:64
.LBB61_4:
	s_or_b32 exec_lo, exec_lo, s0
	; wave barrier
	s_waitcnt lgkmcnt(0)
	s_barrier
	buffer_gl0_inv
	ds_load_b32 v13, v0 offset:64
	v_and_b32_e32 v14, 15, v4
	v_min_u32_e32 v7, 0x1e0, v7
	s_delay_alu instid0(VALU_DEP_2) | instskip(SKIP_4) | instid1(VALU_DEP_1)
	v_cmp_eq_u32_e32 vcc_lo, 0, v14
	v_cmp_lt_u32_e64 s0, 1, v14
	v_cmp_lt_u32_e64 s1, 3, v14
	;; [unrolled: 1-line block ×3, first 2 shown]
	v_or_b32_e32 v16, 31, v7
	v_cmp_eq_u32_e64 s3, v16, v1
	s_waitcnt lgkmcnt(0)
	v_mov_b32_dpp v15, v13 row_shr:1 row_mask:0xf bank_mask:0xf
	s_delay_alu instid0(VALU_DEP_1) | instskip(NEXT) | instid1(VALU_DEP_1)
	v_cndmask_b32_e64 v15, v15, 0, vcc_lo
	v_add_nc_u32_e32 v13, v15, v13
	s_delay_alu instid0(VALU_DEP_1) | instskip(NEXT) | instid1(VALU_DEP_1)
	v_mov_b32_dpp v15, v13 row_shr:2 row_mask:0xf bank_mask:0xf
	v_cndmask_b32_e64 v15, 0, v15, s0
	s_delay_alu instid0(VALU_DEP_1) | instskip(NEXT) | instid1(VALU_DEP_1)
	v_add_nc_u32_e32 v13, v13, v15
	v_mov_b32_dpp v15, v13 row_shr:4 row_mask:0xf bank_mask:0xf
	s_delay_alu instid0(VALU_DEP_1) | instskip(NEXT) | instid1(VALU_DEP_1)
	v_cndmask_b32_e64 v15, 0, v15, s1
	v_add_nc_u32_e32 v13, v13, v15
	s_delay_alu instid0(VALU_DEP_1) | instskip(NEXT) | instid1(VALU_DEP_1)
	v_mov_b32_dpp v15, v13 row_shr:8 row_mask:0xf bank_mask:0xf
	v_cndmask_b32_e64 v14, 0, v15, s2
	v_bfe_i32 v15, v4, 4, 1
	s_delay_alu instid0(VALU_DEP_2) | instskip(SKIP_4) | instid1(VALU_DEP_2)
	v_add_nc_u32_e32 v14, v13, v14
	ds_swizzle_b32 v13, v14 offset:swizzle(BROADCAST,32,15)
	s_waitcnt lgkmcnt(0)
	v_and_b32_e32 v15, v15, v13
	v_lshrrev_b32_e32 v13, 5, v1
	v_add_nc_u32_e32 v7, v14, v15
	s_and_saveexec_b32 s4, s3
	s_delay_alu instid0(SALU_CYCLE_1)
	s_xor_b32 s3, exec_lo, s4
	s_cbranch_execz .LBB61_6
; %bb.5:
	v_lshlrev_b32_e32 v14, 2, v13
	ds_store_b32 v14, v7
.LBB61_6:
	s_or_b32 exec_lo, exec_lo, s3
	s_delay_alu instid0(SALU_CYCLE_1)
	s_mov_b32 s4, exec_lo
	s_waitcnt lgkmcnt(0)
	s_barrier
	buffer_gl0_inv
	v_cmpx_gt_u32_e32 16, v1
	s_cbranch_execz .LBB61_8
; %bb.7:
	ds_load_b32 v14, v0
	s_waitcnt lgkmcnt(0)
	v_mov_b32_dpp v15, v14 row_shr:1 row_mask:0xf bank_mask:0xf
	s_delay_alu instid0(VALU_DEP_1) | instskip(NEXT) | instid1(VALU_DEP_1)
	v_cndmask_b32_e64 v15, v15, 0, vcc_lo
	v_add_nc_u32_e32 v14, v15, v14
	s_delay_alu instid0(VALU_DEP_1) | instskip(NEXT) | instid1(VALU_DEP_1)
	v_mov_b32_dpp v15, v14 row_shr:2 row_mask:0xf bank_mask:0xf
	v_cndmask_b32_e64 v15, 0, v15, s0
	s_delay_alu instid0(VALU_DEP_1) | instskip(NEXT) | instid1(VALU_DEP_1)
	v_add_nc_u32_e32 v14, v14, v15
	v_mov_b32_dpp v15, v14 row_shr:4 row_mask:0xf bank_mask:0xf
	s_delay_alu instid0(VALU_DEP_1) | instskip(NEXT) | instid1(VALU_DEP_1)
	v_cndmask_b32_e64 v15, 0, v15, s1
	v_add_nc_u32_e32 v14, v14, v15
	s_delay_alu instid0(VALU_DEP_1) | instskip(NEXT) | instid1(VALU_DEP_1)
	v_mov_b32_dpp v15, v14 row_shr:8 row_mask:0xf bank_mask:0xf
	v_cndmask_b32_e64 v15, 0, v15, s2
	s_delay_alu instid0(VALU_DEP_1)
	v_add_nc_u32_e32 v14, v14, v15
	ds_store_b32 v0, v14
.LBB61_8:
	s_or_b32 exec_lo, exec_lo, s4
	v_cmp_lt_u32_e32 vcc_lo, 31, v1
	v_mov_b32_e32 v1, 0
	s_waitcnt lgkmcnt(0)
	s_barrier
	buffer_gl0_inv
	s_and_saveexec_b32 s0, vcc_lo
	s_cbranch_execz .LBB61_10
; %bb.9:
	v_lshl_add_u32 v1, v13, 2, -4
	ds_load_b32 v1, v1
.LBB61_10:
	s_or_b32 exec_lo, exec_lo, s0
	v_add_nc_u32_e32 v13, -1, v4
	s_waitcnt lgkmcnt(0)
	v_add_nc_u32_e32 v7, v1, v7
	s_add_u32 s0, s6, s8
	s_addc_u32 s1, s7, s9
	v_lshlrev_b32_e32 v2, 2, v2
	v_cmp_gt_i32_e32 vcc_lo, 0, v13
	v_cndmask_b32_e32 v13, v13, v4, vcc_lo
	v_cmp_eq_u32_e32 vcc_lo, 0, v4
	s_delay_alu instid0(VALU_DEP_2)
	v_lshlrev_b32_e32 v13, 2, v13
	ds_bpermute_b32 v7, v13, v7
	s_waitcnt lgkmcnt(0)
	v_cndmask_b32_e32 v1, v7, v1, vcc_lo
	ds_store_b32 v0, v1 offset:64
	s_waitcnt lgkmcnt(0)
	s_barrier
	buffer_gl0_inv
	ds_load_b32 v0, v9 offset:64
	ds_load_b32 v1, v10 offset:64
	s_waitcnt lgkmcnt(0)
	s_barrier
	buffer_gl0_inv
	v_add_nc_u32_e32 v0, v0, v8
	v_add3_u32 v1, v12, v11, v1
	ds_store_b32 v5, v0
	ds_store_b32 v6, v1
	; wave barrier
	ds_load_2addr_b32 v[0:1], v3 offset1:1
	s_waitcnt lgkmcnt(0)
	global_store_b64 v2, v[0:1], s[0:1]
	s_nop 0
	s_sendmsg sendmsg(MSG_DEALLOC_VGPRS)
	s_endpgm
	.section	.rodata,"a",@progbits
	.p2align	6, 0x0
	.amdhsa_kernel _Z11rank_kernelILj512ELj2ELj4ELb0EL18RadixRankAlgorithm2EfEvPKT4_Pijj
		.amdhsa_group_segment_fixed_size 4224
		.amdhsa_private_segment_fixed_size 0
		.amdhsa_kernarg_size 280
		.amdhsa_user_sgpr_count 15
		.amdhsa_user_sgpr_dispatch_ptr 0
		.amdhsa_user_sgpr_queue_ptr 0
		.amdhsa_user_sgpr_kernarg_segment_ptr 1
		.amdhsa_user_sgpr_dispatch_id 0
		.amdhsa_user_sgpr_private_segment_size 0
		.amdhsa_wavefront_size32 1
		.amdhsa_uses_dynamic_stack 0
		.amdhsa_enable_private_segment 0
		.amdhsa_system_sgpr_workgroup_id_x 1
		.amdhsa_system_sgpr_workgroup_id_y 0
		.amdhsa_system_sgpr_workgroup_id_z 0
		.amdhsa_system_sgpr_workgroup_info 0
		.amdhsa_system_vgpr_workitem_id 2
		.amdhsa_next_free_vgpr 17
		.amdhsa_next_free_sgpr 16
		.amdhsa_reserve_vcc 1
		.amdhsa_float_round_mode_32 0
		.amdhsa_float_round_mode_16_64 0
		.amdhsa_float_denorm_mode_32 3
		.amdhsa_float_denorm_mode_16_64 3
		.amdhsa_dx10_clamp 1
		.amdhsa_ieee_mode 1
		.amdhsa_fp16_overflow 0
		.amdhsa_workgroup_processor_mode 1
		.amdhsa_memory_ordered 1
		.amdhsa_forward_progress 0
		.amdhsa_shared_vgpr_count 0
		.amdhsa_exception_fp_ieee_invalid_op 0
		.amdhsa_exception_fp_denorm_src 0
		.amdhsa_exception_fp_ieee_div_zero 0
		.amdhsa_exception_fp_ieee_overflow 0
		.amdhsa_exception_fp_ieee_underflow 0
		.amdhsa_exception_fp_ieee_inexact 0
		.amdhsa_exception_int_div_zero 0
	.end_amdhsa_kernel
	.section	.text._Z11rank_kernelILj512ELj2ELj4ELb0EL18RadixRankAlgorithm2EfEvPKT4_Pijj,"axG",@progbits,_Z11rank_kernelILj512ELj2ELj4ELb0EL18RadixRankAlgorithm2EfEvPKT4_Pijj,comdat
.Lfunc_end61:
	.size	_Z11rank_kernelILj512ELj2ELj4ELb0EL18RadixRankAlgorithm2EfEvPKT4_Pijj, .Lfunc_end61-_Z11rank_kernelILj512ELj2ELj4ELb0EL18RadixRankAlgorithm2EfEvPKT4_Pijj
                                        ; -- End function
	.section	.AMDGPU.csdata,"",@progbits
; Kernel info:
; codeLenInByte = 1520
; NumSgprs: 18
; NumVgprs: 17
; ScratchSize: 0
; MemoryBound: 0
; FloatMode: 240
; IeeeMode: 1
; LDSByteSize: 4224 bytes/workgroup (compile time only)
; SGPRBlocks: 2
; VGPRBlocks: 2
; NumSGPRsForWavesPerEU: 18
; NumVGPRsForWavesPerEU: 17
; Occupancy: 16
; WaveLimiterHint : 0
; COMPUTE_PGM_RSRC2:SCRATCH_EN: 0
; COMPUTE_PGM_RSRC2:USER_SGPR: 15
; COMPUTE_PGM_RSRC2:TRAP_HANDLER: 0
; COMPUTE_PGM_RSRC2:TGID_X_EN: 1
; COMPUTE_PGM_RSRC2:TGID_Y_EN: 0
; COMPUTE_PGM_RSRC2:TGID_Z_EN: 0
; COMPUTE_PGM_RSRC2:TIDIG_COMP_CNT: 2
	.section	.text._Z11rank_kernelILj256ELj7ELj4ELb0EL18RadixRankAlgorithm2EtEvPKT4_Pijj,"axG",@progbits,_Z11rank_kernelILj256ELj7ELj4ELb0EL18RadixRankAlgorithm2EtEvPKT4_Pijj,comdat
	.protected	_Z11rank_kernelILj256ELj7ELj4ELb0EL18RadixRankAlgorithm2EtEvPKT4_Pijj ; -- Begin function _Z11rank_kernelILj256ELj7ELj4ELb0EL18RadixRankAlgorithm2EtEvPKT4_Pijj
	.globl	_Z11rank_kernelILj256ELj7ELj4ELb0EL18RadixRankAlgorithm2EtEvPKT4_Pijj
	.p2align	8
	.type	_Z11rank_kernelILj256ELj7ELj4ELb0EL18RadixRankAlgorithm2EtEvPKT4_Pijj,@function
_Z11rank_kernelILj256ELj7ELj4ELb0EL18RadixRankAlgorithm2EtEvPKT4_Pijj: ; @_Z11rank_kernelILj256ELj7ELj4ELb0EL18RadixRankAlgorithm2EtEvPKT4_Pijj
; %bb.0:
	s_clause 0x1
	s_load_b128 s[4:7], s[0:1], 0x0
	s_load_b64 s[10:11], s[0:1], 0x10
	v_and_b32_e32 v1, 0x3ff, v0
	s_mov_b32 s3, 0
	s_mul_i32 s2, s15, 0x700
	v_mbcnt_lo_u32_b32 v5, -1, 0
	s_lshl_b64 s[8:9], s[2:3], 1
	v_mul_u32_u24_e32 v2, 7, v1
	v_lshrrev_b32_e32 v6, 5, v1
	v_bfe_u32 v14, v0, 10, 10
	v_bfe_u32 v0, v0, 20, 10
	s_delay_alu instid0(VALU_DEP_4) | instskip(NEXT) | instid1(VALU_DEP_4)
	v_lshlrev_b32_e32 v3, 1, v2
	v_mul_u32_u24_e32 v4, 0xe0, v6
	s_waitcnt lgkmcnt(0)
	s_add_u32 s4, s4, s8
	s_addc_u32 s5, s5, s9
	s_clause 0x1
	global_load_b96 v[7:9], v3, s[4:5]
	global_load_u16 v10, v3, s[4:5] offset:12
	v_mad_u32_u24 v3, v5, 7, v4
	v_or_b32_e32 v4, v5, v4
	s_load_b32 s0, s[0:1], 0x24
	s_and_b32 s5, s11, 31
	s_delay_alu instid0(VALU_DEP_2) | instskip(NEXT) | instid1(VALU_DEP_2)
	v_lshlrev_b32_e32 v11, 1, v3
	v_lshlrev_b32_e32 v13, 1, v4
	s_waitcnt vmcnt(1)
	ds_store_b96 v11, v[7:9]
	s_waitcnt vmcnt(0)
	ds_store_b16 v11, v10 offset:12
	; wave barrier
	ds_load_u16 v7, v13
	s_waitcnt lgkmcnt(0)
	s_lshr_b32 s8, s0, 16
	s_and_b32 s9, s0, 0xffff
	s_cmp_eq_u32 s5, 0
	v_mad_u32_u24 v0, v0, s8, v14
	s_cselect_b32 s1, -1, 0
	s_and_b32 s0, s10, 31
	ds_load_u16 v9, v13 offset:64
	ds_load_u16 v12, v13 offset:128
	;; [unrolled: 1-line block ×6, first 2 shown]
	s_add_i32 s0, s0, s5
	s_sub_i32 s5, 32, s5
	s_sub_i32 s4, 32, s0
	s_waitcnt lgkmcnt(0)
	s_barrier
	buffer_gl0_inv
	v_lshlrev_b32_e32 v7, s4, v7
	s_delay_alu instid0(VALU_DEP_1) | instskip(NEXT) | instid1(VALU_DEP_1)
	v_bfe_u32 v7, v7, s5, 16
	v_cndmask_b32_e64 v8, v7, 0, s1
	s_delay_alu instid0(VALU_DEP_1) | instskip(SKIP_2) | instid1(VALU_DEP_3)
	v_and_b32_e32 v7, 1, v8
	v_lshlrev_b32_e32 v10, 30, v8
	v_lshlrev_b32_e32 v15, 29, v8
	v_add_co_u32 v7, s0, v7, -1
	s_delay_alu instid0(VALU_DEP_1) | instskip(NEXT) | instid1(VALU_DEP_4)
	v_cndmask_b32_e64 v11, 0, 1, s0
	v_not_b32_e32 v16, v10
	v_cmp_gt_i32_e64 s0, 0, v10
	v_not_b32_e32 v10, v15
	s_delay_alu instid0(VALU_DEP_4) | instskip(SKIP_2) | instid1(VALU_DEP_4)
	v_cmp_ne_u32_e32 vcc_lo, 0, v11
	v_lshlrev_b32_e32 v11, 28, v8
	v_ashrrev_i32_e32 v16, 31, v16
	v_ashrrev_i32_e32 v10, 31, v10
	v_mul_u32_u24_e32 v8, 9, v8
	v_xor_b32_e32 v7, vcc_lo, v7
	v_cmp_gt_i32_e32 vcc_lo, 0, v15
	v_not_b32_e32 v15, v11
	v_xor_b32_e32 v16, s0, v16
	v_cmp_gt_i32_e64 s0, 0, v11
	v_and_b32_e32 v7, exec_lo, v7
	v_xor_b32_e32 v10, vcc_lo, v10
	v_ashrrev_i32_e32 v11, 31, v15
	v_mad_u64_u32 v[14:15], null, v0, s9, v[1:2]
	s_delay_alu instid0(VALU_DEP_4) | instskip(NEXT) | instid1(VALU_DEP_3)
	v_and_b32_e32 v7, v7, v16
	v_xor_b32_e32 v0, s0, v11
	v_mov_b32_e32 v11, 0
	s_delay_alu instid0(VALU_DEP_3) | instskip(SKIP_1) | instid1(VALU_DEP_2)
	v_and_b32_e32 v7, v7, v10
	v_lshrrev_b32_e32 v15, 5, v14
	v_and_b32_e32 v10, v7, v0
	v_lshlrev_b32_e32 v7, 2, v1
	s_delay_alu instid0(VALU_DEP_3) | instskip(NEXT) | instid1(VALU_DEP_3)
	v_add_lshl_u32 v8, v15, v8, 2
	v_mbcnt_lo_u32_b32 v0, v10, 0
	v_cmp_ne_u32_e64 s0, 0, v10
	ds_store_b32 v7, v11 offset:32
	s_waitcnt lgkmcnt(0)
	s_barrier
	v_cmp_eq_u32_e32 vcc_lo, 0, v0
	buffer_gl0_inv
	; wave barrier
	s_and_b32 s8, s0, vcc_lo
	s_delay_alu instid0(SALU_CYCLE_1)
	s_and_saveexec_b32 s0, s8
	s_cbranch_execz .LBB62_2
; %bb.1:
	v_bcnt_u32_b32 v10, v10, 0
	ds_store_b32 v8, v10 offset:32
.LBB62_2:
	s_or_b32 exec_lo, exec_lo, s0
	v_and_b32_e32 v9, 0xffff, v9
	; wave barrier
	s_delay_alu instid0(VALU_DEP_1) | instskip(NEXT) | instid1(VALU_DEP_1)
	v_lshlrev_b32_e32 v9, s4, v9
	v_bfe_u32 v9, v9, s5, 16
	s_delay_alu instid0(VALU_DEP_1) | instskip(NEXT) | instid1(VALU_DEP_1)
	v_cndmask_b32_e64 v9, v9, 0, s1
	v_and_b32_e32 v10, 1, v9
	v_lshlrev_b32_e32 v11, 30, v9
	v_lshlrev_b32_e32 v16, 29, v9
	s_delay_alu instid0(VALU_DEP_3) | instskip(NEXT) | instid1(VALU_DEP_1)
	v_add_co_u32 v10, s0, v10, -1
	v_cndmask_b32_e64 v14, 0, 1, s0
	s_delay_alu instid0(VALU_DEP_4) | instskip(SKIP_2) | instid1(VALU_DEP_4)
	v_not_b32_e32 v19, v11
	v_cmp_gt_i32_e64 s0, 0, v11
	v_not_b32_e32 v11, v16
	v_cmp_ne_u32_e32 vcc_lo, 0, v14
	v_lshlrev_b32_e32 v14, 28, v9
	v_ashrrev_i32_e32 v19, 31, v19
	s_delay_alu instid0(VALU_DEP_4)
	v_ashrrev_i32_e32 v11, 31, v11
	v_mul_u32_u24_e32 v9, 9, v9
	v_xor_b32_e32 v10, vcc_lo, v10
	v_cmp_gt_i32_e32 vcc_lo, 0, v16
	v_not_b32_e32 v16, v14
	v_xor_b32_e32 v19, s0, v19
	v_cmp_gt_i32_e64 s0, 0, v14
	v_and_b32_e32 v10, exec_lo, v10
	s_delay_alu instid0(VALU_DEP_4) | instskip(SKIP_2) | instid1(VALU_DEP_4)
	v_ashrrev_i32_e32 v14, 31, v16
	v_xor_b32_e32 v16, vcc_lo, v11
	v_add_lshl_u32 v11, v15, v9, 2
	v_and_b32_e32 v10, v10, v19
	s_delay_alu instid0(VALU_DEP_4) | instskip(SKIP_2) | instid1(VALU_DEP_1)
	v_xor_b32_e32 v14, s0, v14
	ds_load_b32 v9, v11 offset:32
	v_and_b32_e32 v10, v10, v16
	; wave barrier
	v_and_b32_e32 v14, v10, v14
	s_delay_alu instid0(VALU_DEP_1) | instskip(SKIP_1) | instid1(VALU_DEP_2)
	v_mbcnt_lo_u32_b32 v10, v14, 0
	v_cmp_ne_u32_e64 s0, 0, v14
	v_cmp_eq_u32_e32 vcc_lo, 0, v10
	s_delay_alu instid0(VALU_DEP_2) | instskip(NEXT) | instid1(SALU_CYCLE_1)
	s_and_b32 s8, s0, vcc_lo
	s_and_saveexec_b32 s0, s8
	s_cbranch_execz .LBB62_4
; %bb.3:
	s_waitcnt lgkmcnt(0)
	v_bcnt_u32_b32 v14, v14, v9
	ds_store_b32 v11, v14 offset:32
.LBB62_4:
	s_or_b32 exec_lo, exec_lo, s0
	v_and_b32_e32 v12, 0xffff, v12
	; wave barrier
	s_delay_alu instid0(VALU_DEP_1) | instskip(NEXT) | instid1(VALU_DEP_1)
	v_lshlrev_b32_e32 v12, s4, v12
	v_bfe_u32 v12, v12, s5, 16
	s_delay_alu instid0(VALU_DEP_1) | instskip(NEXT) | instid1(VALU_DEP_1)
	v_cndmask_b32_e64 v12, v12, 0, s1
	v_and_b32_e32 v14, 1, v12
	v_lshlrev_b32_e32 v16, 30, v12
	v_lshlrev_b32_e32 v20, 29, v12
	s_delay_alu instid0(VALU_DEP_3) | instskip(NEXT) | instid1(VALU_DEP_1)
	v_add_co_u32 v14, s0, v14, -1
	v_cndmask_b32_e64 v19, 0, 1, s0
	s_delay_alu instid0(VALU_DEP_4) | instskip(SKIP_2) | instid1(VALU_DEP_4)
	v_not_b32_e32 v22, v16
	v_cmp_gt_i32_e64 s0, 0, v16
	v_not_b32_e32 v16, v20
	v_cmp_ne_u32_e32 vcc_lo, 0, v19
	v_lshlrev_b32_e32 v19, 28, v12
	v_ashrrev_i32_e32 v22, 31, v22
	s_delay_alu instid0(VALU_DEP_4)
	v_ashrrev_i32_e32 v16, 31, v16
	v_mul_u32_u24_e32 v12, 9, v12
	v_xor_b32_e32 v14, vcc_lo, v14
	v_cmp_gt_i32_e32 vcc_lo, 0, v20
	v_not_b32_e32 v20, v19
	v_xor_b32_e32 v22, s0, v22
	v_cmp_gt_i32_e64 s0, 0, v19
	v_and_b32_e32 v14, exec_lo, v14
	s_delay_alu instid0(VALU_DEP_4) | instskip(SKIP_2) | instid1(VALU_DEP_4)
	v_ashrrev_i32_e32 v19, 31, v20
	v_xor_b32_e32 v20, vcc_lo, v16
	v_add_lshl_u32 v16, v15, v12, 2
	v_and_b32_e32 v14, v14, v22
	s_delay_alu instid0(VALU_DEP_4) | instskip(SKIP_2) | instid1(VALU_DEP_1)
	v_xor_b32_e32 v19, s0, v19
	ds_load_b32 v12, v16 offset:32
	v_and_b32_e32 v14, v14, v20
	; wave barrier
	v_and_b32_e32 v19, v14, v19
	s_delay_alu instid0(VALU_DEP_1) | instskip(SKIP_1) | instid1(VALU_DEP_2)
	v_mbcnt_lo_u32_b32 v14, v19, 0
	v_cmp_ne_u32_e64 s0, 0, v19
	v_cmp_eq_u32_e32 vcc_lo, 0, v14
	s_delay_alu instid0(VALU_DEP_2) | instskip(NEXT) | instid1(SALU_CYCLE_1)
	s_and_b32 s8, s0, vcc_lo
	s_and_saveexec_b32 s0, s8
	s_cbranch_execz .LBB62_6
; %bb.5:
	s_waitcnt lgkmcnt(0)
	v_bcnt_u32_b32 v19, v19, v12
	ds_store_b32 v16, v19 offset:32
.LBB62_6:
	;; [unrolled: 54-line block ×5, first 2 shown]
	s_or_b32 exec_lo, exec_lo, s0
	v_and_b32_e32 v13, 0xffff, v13
	; wave barrier
	s_delay_alu instid0(VALU_DEP_1) | instskip(NEXT) | instid1(VALU_DEP_1)
	v_lshlrev_b32_e32 v13, s4, v13
	v_bfe_u32 v13, v13, s5, 16
	s_delay_alu instid0(VALU_DEP_1) | instskip(NEXT) | instid1(VALU_DEP_1)
	v_cndmask_b32_e64 v13, v13, 0, s1
	v_and_b32_e32 v26, 1, v13
	v_lshlrev_b32_e32 v27, 30, v13
	v_lshlrev_b32_e32 v29, 29, v13
	s_delay_alu instid0(VALU_DEP_3) | instskip(NEXT) | instid1(VALU_DEP_1)
	v_add_co_u32 v26, s0, v26, -1
	v_cndmask_b32_e64 v28, 0, 1, s0
	s_delay_alu instid0(VALU_DEP_4) | instskip(SKIP_2) | instid1(VALU_DEP_4)
	v_not_b32_e32 v30, v27
	v_cmp_gt_i32_e64 s0, 0, v27
	v_not_b32_e32 v27, v29
	v_cmp_ne_u32_e32 vcc_lo, 0, v28
	v_lshlrev_b32_e32 v28, 28, v13
	v_ashrrev_i32_e32 v30, 31, v30
	s_delay_alu instid0(VALU_DEP_4)
	v_ashrrev_i32_e32 v27, 31, v27
	v_mul_u32_u24_e32 v13, 9, v13
	v_xor_b32_e32 v26, vcc_lo, v26
	v_cmp_gt_i32_e32 vcc_lo, 0, v29
	v_not_b32_e32 v29, v28
	v_xor_b32_e32 v30, s0, v30
	v_cmp_gt_i32_e64 s0, 0, v28
	v_and_b32_e32 v26, exec_lo, v26
	v_xor_b32_e32 v27, vcc_lo, v27
	v_ashrrev_i32_e32 v28, 31, v29
	s_delay_alu instid0(VALU_DEP_3) | instskip(SKIP_1) | instid1(VALU_DEP_3)
	v_and_b32_e32 v29, v26, v30
	v_add_lshl_u32 v26, v15, v13, 2
	v_xor_b32_e32 v15, s0, v28
	s_delay_alu instid0(VALU_DEP_3) | instskip(SKIP_2) | instid1(VALU_DEP_1)
	v_and_b32_e32 v27, v29, v27
	ds_load_b32 v13, v26 offset:32
	; wave barrier
	v_and_b32_e32 v27, v27, v15
	v_mbcnt_lo_u32_b32 v15, v27, 0
	v_cmp_ne_u32_e64 s0, 0, v27
	s_delay_alu instid0(VALU_DEP_2) | instskip(NEXT) | instid1(VALU_DEP_2)
	v_cmp_eq_u32_e32 vcc_lo, 0, v15
	s_and_b32 s1, s0, vcc_lo
	s_delay_alu instid0(SALU_CYCLE_1)
	s_and_saveexec_b32 s0, s1
	s_cbranch_execz .LBB62_14
; %bb.13:
	s_waitcnt lgkmcnt(0)
	v_bcnt_u32_b32 v27, v27, v13
	ds_store_b32 v26, v27 offset:32
.LBB62_14:
	s_or_b32 exec_lo, exec_lo, s0
	; wave barrier
	s_waitcnt lgkmcnt(0)
	s_barrier
	buffer_gl0_inv
	ds_load_b32 v27, v7 offset:32
	v_and_b32_e32 v28, 15, v5
	v_bfe_i32 v30, v5, 4, 1
	s_mov_b32 s0, exec_lo
	s_delay_alu instid0(VALU_DEP_2) | instskip(SKIP_2) | instid1(VALU_DEP_1)
	v_cmp_ne_u32_e32 vcc_lo, 0, v28
	s_waitcnt lgkmcnt(0)
	v_mov_b32_dpp v29, v27 row_shr:1 row_mask:0xf bank_mask:0xf
	v_cndmask_b32_e32 v29, 0, v29, vcc_lo
	v_cmp_lt_u32_e32 vcc_lo, 1, v28
	s_delay_alu instid0(VALU_DEP_2) | instskip(NEXT) | instid1(VALU_DEP_1)
	v_add_nc_u32_e32 v27, v29, v27
	v_mov_b32_dpp v29, v27 row_shr:2 row_mask:0xf bank_mask:0xf
	s_delay_alu instid0(VALU_DEP_1) | instskip(SKIP_1) | instid1(VALU_DEP_2)
	v_cndmask_b32_e32 v29, 0, v29, vcc_lo
	v_cmp_lt_u32_e32 vcc_lo, 3, v28
	v_add_nc_u32_e32 v27, v27, v29
	s_delay_alu instid0(VALU_DEP_1) | instskip(NEXT) | instid1(VALU_DEP_1)
	v_mov_b32_dpp v29, v27 row_shr:4 row_mask:0xf bank_mask:0xf
	v_cndmask_b32_e32 v29, 0, v29, vcc_lo
	v_cmp_lt_u32_e32 vcc_lo, 7, v28
	s_delay_alu instid0(VALU_DEP_2) | instskip(NEXT) | instid1(VALU_DEP_1)
	v_add_nc_u32_e32 v27, v27, v29
	v_mov_b32_dpp v29, v27 row_shr:8 row_mask:0xf bank_mask:0xf
	s_delay_alu instid0(VALU_DEP_1) | instskip(SKIP_1) | instid1(VALU_DEP_2)
	v_cndmask_b32_e32 v28, 0, v29, vcc_lo
	v_and_b32_e32 v29, 0x3e0, v1
	v_add_nc_u32_e32 v27, v27, v28
	s_delay_alu instid0(VALU_DEP_2) | instskip(SKIP_4) | instid1(VALU_DEP_1)
	v_min_u32_e32 v29, 0xe0, v29
	ds_swizzle_b32 v28, v27 offset:swizzle(BROADCAST,32,15)
	v_or_b32_e32 v29, 31, v29
	s_waitcnt lgkmcnt(0)
	v_and_b32_e32 v28, v30, v28
	v_add_nc_u32_e32 v27, v27, v28
	s_delay_alu instid0(VALU_DEP_3)
	v_cmpx_eq_u32_e64 v29, v1
	s_xor_b32 s0, exec_lo, s0
	s_cbranch_execz .LBB62_16
; %bb.15:
	v_lshlrev_b32_e32 v28, 2, v6
	ds_store_b32 v28, v27
.LBB62_16:
	s_or_b32 exec_lo, exec_lo, s0
	s_delay_alu instid0(SALU_CYCLE_1)
	s_mov_b32 s0, exec_lo
	s_waitcnt lgkmcnt(0)
	s_barrier
	buffer_gl0_inv
	v_cmpx_gt_u32_e32 8, v1
	s_cbranch_execz .LBB62_18
; %bb.17:
	ds_load_b32 v28, v7
	s_waitcnt lgkmcnt(0)
	v_mov_b32_dpp v30, v28 row_shr:1 row_mask:0xf bank_mask:0xf
	v_and_b32_e32 v29, 7, v5
	s_delay_alu instid0(VALU_DEP_1) | instskip(NEXT) | instid1(VALU_DEP_3)
	v_cmp_ne_u32_e32 vcc_lo, 0, v29
	v_cndmask_b32_e32 v30, 0, v30, vcc_lo
	v_cmp_lt_u32_e32 vcc_lo, 1, v29
	s_delay_alu instid0(VALU_DEP_2) | instskip(NEXT) | instid1(VALU_DEP_1)
	v_add_nc_u32_e32 v28, v30, v28
	v_mov_b32_dpp v30, v28 row_shr:2 row_mask:0xf bank_mask:0xf
	s_delay_alu instid0(VALU_DEP_1) | instskip(SKIP_1) | instid1(VALU_DEP_2)
	v_cndmask_b32_e32 v30, 0, v30, vcc_lo
	v_cmp_lt_u32_e32 vcc_lo, 3, v29
	v_add_nc_u32_e32 v28, v28, v30
	s_delay_alu instid0(VALU_DEP_1) | instskip(NEXT) | instid1(VALU_DEP_1)
	v_mov_b32_dpp v30, v28 row_shr:4 row_mask:0xf bank_mask:0xf
	v_cndmask_b32_e32 v29, 0, v30, vcc_lo
	s_delay_alu instid0(VALU_DEP_1)
	v_add_nc_u32_e32 v28, v28, v29
	ds_store_b32 v7, v28
.LBB62_18:
	s_or_b32 exec_lo, exec_lo, s0
	v_cmp_lt_u32_e32 vcc_lo, 31, v1
	v_mov_b32_e32 v1, 0
	s_waitcnt lgkmcnt(0)
	s_barrier
	buffer_gl0_inv
	s_and_saveexec_b32 s0, vcc_lo
	s_cbranch_execz .LBB62_20
; %bb.19:
	v_lshl_add_u32 v1, v6, 2, -4
	ds_load_b32 v1, v1
.LBB62_20:
	s_or_b32 exec_lo, exec_lo, s0
	v_add_nc_u32_e32 v6, -1, v5
	s_lshl_b64 s[0:1], s[2:3], 2
	s_waitcnt lgkmcnt(0)
	v_add_nc_u32_e32 v27, v1, v27
	s_add_u32 s0, s6, s0
	s_addc_u32 s1, s7, s1
	v_cmp_gt_i32_e32 vcc_lo, 0, v6
	v_lshlrev_b32_e32 v4, 2, v4
	v_cndmask_b32_e32 v6, v6, v5, vcc_lo
	v_cmp_eq_u32_e32 vcc_lo, 0, v5
	s_delay_alu instid0(VALU_DEP_2)
	v_lshlrev_b32_e32 v6, 2, v6
	ds_bpermute_b32 v6, v6, v27
	s_waitcnt lgkmcnt(0)
	v_cndmask_b32_e32 v1, v6, v1, vcc_lo
	ds_store_b32 v7, v1 offset:32
	s_waitcnt lgkmcnt(0)
	s_barrier
	buffer_gl0_inv
	ds_load_b32 v1, v8 offset:32
	ds_load_b32 v5, v11 offset:32
	;; [unrolled: 1-line block ×7, first 2 shown]
	v_lshlrev_b32_e32 v20, 2, v3
	s_waitcnt lgkmcnt(0)
	s_barrier
	buffer_gl0_inv
	v_add_nc_u32_e32 v0, v1, v0
	v_add3_u32 v1, v10, v9, v5
	v_add3_u32 v3, v14, v12, v6
	v_add3_u32 v5, v19, v17, v7
	v_add3_u32 v6, v22, v21, v8
	v_add3_u32 v7, v24, v18, v11
	v_add3_u32 v8, v15, v13, v16
	ds_store_2addr_b32 v4, v0, v1 offset1:32
	ds_store_2addr_b32 v4, v3, v5 offset0:64 offset1:96
	ds_store_2addr_b32 v4, v6, v7 offset0:128 offset1:160
	ds_store_b32 v4, v8 offset:768
	; wave barrier
	ds_load_2addr_b32 v[3:4], v20 offset1:1
	ds_load_2addr_b32 v[5:6], v20 offset0:2 offset1:3
	ds_load_2addr_b32 v[7:8], v20 offset0:4 offset1:5
	ds_load_b32 v9, v20 offset:24
	v_lshlrev_b32_e32 v0, 2, v2
	s_waitcnt lgkmcnt(2)
	global_store_b128 v0, v[3:6], s[0:1]
	s_waitcnt lgkmcnt(0)
	global_store_b96 v0, v[7:9], s[0:1] offset:16
	s_nop 0
	s_sendmsg sendmsg(MSG_DEALLOC_VGPRS)
	s_endpgm
	.section	.rodata,"a",@progbits
	.p2align	6, 0x0
	.amdhsa_kernel _Z11rank_kernelILj256ELj7ELj4ELb0EL18RadixRankAlgorithm2EtEvPKT4_Pijj
		.amdhsa_group_segment_fixed_size 7168
		.amdhsa_private_segment_fixed_size 0
		.amdhsa_kernarg_size 280
		.amdhsa_user_sgpr_count 15
		.amdhsa_user_sgpr_dispatch_ptr 0
		.amdhsa_user_sgpr_queue_ptr 0
		.amdhsa_user_sgpr_kernarg_segment_ptr 1
		.amdhsa_user_sgpr_dispatch_id 0
		.amdhsa_user_sgpr_private_segment_size 0
		.amdhsa_wavefront_size32 1
		.amdhsa_uses_dynamic_stack 0
		.amdhsa_enable_private_segment 0
		.amdhsa_system_sgpr_workgroup_id_x 1
		.amdhsa_system_sgpr_workgroup_id_y 0
		.amdhsa_system_sgpr_workgroup_id_z 0
		.amdhsa_system_sgpr_workgroup_info 0
		.amdhsa_system_vgpr_workitem_id 2
		.amdhsa_next_free_vgpr 31
		.amdhsa_next_free_sgpr 16
		.amdhsa_reserve_vcc 1
		.amdhsa_float_round_mode_32 0
		.amdhsa_float_round_mode_16_64 0
		.amdhsa_float_denorm_mode_32 3
		.amdhsa_float_denorm_mode_16_64 3
		.amdhsa_dx10_clamp 1
		.amdhsa_ieee_mode 1
		.amdhsa_fp16_overflow 0
		.amdhsa_workgroup_processor_mode 1
		.amdhsa_memory_ordered 1
		.amdhsa_forward_progress 0
		.amdhsa_shared_vgpr_count 0
		.amdhsa_exception_fp_ieee_invalid_op 0
		.amdhsa_exception_fp_denorm_src 0
		.amdhsa_exception_fp_ieee_div_zero 0
		.amdhsa_exception_fp_ieee_overflow 0
		.amdhsa_exception_fp_ieee_underflow 0
		.amdhsa_exception_fp_ieee_inexact 0
		.amdhsa_exception_int_div_zero 0
	.end_amdhsa_kernel
	.section	.text._Z11rank_kernelILj256ELj7ELj4ELb0EL18RadixRankAlgorithm2EtEvPKT4_Pijj,"axG",@progbits,_Z11rank_kernelILj256ELj7ELj4ELb0EL18RadixRankAlgorithm2EtEvPKT4_Pijj,comdat
.Lfunc_end62:
	.size	_Z11rank_kernelILj256ELj7ELj4ELb0EL18RadixRankAlgorithm2EtEvPKT4_Pijj, .Lfunc_end62-_Z11rank_kernelILj256ELj7ELj4ELb0EL18RadixRankAlgorithm2EtEvPKT4_Pijj
                                        ; -- End function
	.section	.AMDGPU.csdata,"",@progbits
; Kernel info:
; codeLenInByte = 2828
; NumSgprs: 18
; NumVgprs: 31
; ScratchSize: 0
; MemoryBound: 0
; FloatMode: 240
; IeeeMode: 1
; LDSByteSize: 7168 bytes/workgroup (compile time only)
; SGPRBlocks: 2
; VGPRBlocks: 3
; NumSGPRsForWavesPerEU: 18
; NumVGPRsForWavesPerEU: 31
; Occupancy: 16
; WaveLimiterHint : 0
; COMPUTE_PGM_RSRC2:SCRATCH_EN: 0
; COMPUTE_PGM_RSRC2:USER_SGPR: 15
; COMPUTE_PGM_RSRC2:TRAP_HANDLER: 0
; COMPUTE_PGM_RSRC2:TGID_X_EN: 1
; COMPUTE_PGM_RSRC2:TGID_Y_EN: 0
; COMPUTE_PGM_RSRC2:TGID_Z_EN: 0
; COMPUTE_PGM_RSRC2:TIDIG_COMP_CNT: 2
	.section	.text._Z11rank_kernelILj128ELj4ELj4ELb0EL18RadixRankAlgorithm2EiEvPKT4_Pijj,"axG",@progbits,_Z11rank_kernelILj128ELj4ELj4ELb0EL18RadixRankAlgorithm2EiEvPKT4_Pijj,comdat
	.protected	_Z11rank_kernelILj128ELj4ELj4ELb0EL18RadixRankAlgorithm2EiEvPKT4_Pijj ; -- Begin function _Z11rank_kernelILj128ELj4ELj4ELb0EL18RadixRankAlgorithm2EiEvPKT4_Pijj
	.globl	_Z11rank_kernelILj128ELj4ELj4ELb0EL18RadixRankAlgorithm2EiEvPKT4_Pijj
	.p2align	8
	.type	_Z11rank_kernelILj128ELj4ELj4ELb0EL18RadixRankAlgorithm2EiEvPKT4_Pijj,@function
_Z11rank_kernelILj128ELj4ELj4ELb0EL18RadixRankAlgorithm2EiEvPKT4_Pijj: ; @_Z11rank_kernelILj128ELj4ELj4ELb0EL18RadixRankAlgorithm2EiEvPKT4_Pijj
; %bb.0:
	s_clause 0x1
	s_load_b128 s[4:7], s[0:1], 0x0
	s_load_b64 s[8:9], s[0:1], 0x10
	v_and_b32_e32 v1, 0x3ff, v0
	s_mov_b32 s3, 0
	s_lshl_b32 s2, s15, 9
	v_mbcnt_lo_u32_b32 v5, -1, 0
	s_lshl_b64 s[2:3], s[2:3], 2
	v_lshlrev_b32_e32 v2, 4, v1
	v_and_b32_e32 v9, 0x60, v1
	s_load_b32 s0, s[0:1], 0x24
	v_bfe_u32 v17, v0, 10, 10
	v_bfe_u32 v0, v0, 20, 10
	s_delay_alu instid0(VALU_DEP_3) | instskip(NEXT) | instid1(VALU_DEP_1)
	v_or_b32_e32 v3, v5, v9
	v_lshlrev_b32_e32 v6, 2, v3
	v_bfe_u32 v3, v3, 3, 27
	s_waitcnt lgkmcnt(0)
	s_add_u32 s4, s4, s2
	s_addc_u32 s5, s5, s3
	global_load_b128 v[10:13], v2, s[4:5]
	v_lshlrev_b32_e32 v2, 2, v1
	v_add_lshl_u32 v3, v3, v6, 2
	s_and_b32 s5, s9, 31
	s_waitcnt vmcnt(0)
	ds_store_2addr_b32 v3, v10, v11 offset1:1
	ds_store_2addr_b32 v3, v12, v13 offset0:2 offset1:3
	v_and_b32_e32 v4, 0x180, v2
	; wave barrier
	s_lshr_b32 s10, s0, 16
	s_and_b32 s9, s0, 0xffff
	s_delay_alu instid0(VALU_DEP_1)
	v_or_b32_e32 v7, v5, v4
	v_lshrrev_b32_e32 v4, 5, v4
	s_cmp_eq_u32 s5, 0
	v_mad_u32_u24 v0, v0, s10, v17
	s_cselect_b32 s1, -1, 0
	s_and_b32 s0, s8, 31
	v_add_lshl_u32 v4, v4, v7, 2
	s_add_i32 s0, s0, s5
	s_sub_i32 s5, 32, s5
	s_sub_i32 s4, 32, s0
	v_or_b32_e32 v6, 32, v7
	ds_load_b32 v10, v4
	v_or_b32_e32 v8, 64, v7
	v_or_b32_e32 v11, 0x60, v7
	v_lshrrev_b32_e32 v7, 5, v6
	s_delay_alu instid0(VALU_DEP_3) | instskip(NEXT) | instid1(VALU_DEP_3)
	v_lshrrev_b32_e32 v12, 5, v8
	v_lshrrev_b32_e32 v13, 5, v11
	s_delay_alu instid0(VALU_DEP_3) | instskip(NEXT) | instid1(VALU_DEP_3)
	v_add_lshl_u32 v6, v7, v6, 2
	v_add_lshl_u32 v7, v12, v8, 2
	s_delay_alu instid0(VALU_DEP_3)
	v_add_lshl_u32 v8, v13, v11, 2
	ds_load_b32 v11, v6
	ds_load_b32 v16, v7
	;; [unrolled: 1-line block ×3, first 2 shown]
	s_waitcnt lgkmcnt(0)
	s_barrier
	buffer_gl0_inv
	v_xor_b32_e32 v10, 0x80000000, v10
	s_delay_alu instid0(VALU_DEP_1) | instskip(NEXT) | instid1(VALU_DEP_1)
	v_lshlrev_b32_e32 v10, s4, v10
	v_lshrrev_b32_e32 v10, s5, v10
	s_delay_alu instid0(VALU_DEP_1) | instskip(NEXT) | instid1(VALU_DEP_1)
	v_cndmask_b32_e64 v10, v10, 0, s1
	v_and_b32_e32 v12, 1, v10
	v_lshlrev_b32_e32 v13, 30, v10
	v_lshlrev_b32_e32 v18, 29, v10
	s_delay_alu instid0(VALU_DEP_3) | instskip(NEXT) | instid1(VALU_DEP_1)
	v_add_co_u32 v12, s0, v12, -1
	v_cndmask_b32_e64 v15, 0, 1, s0
	s_delay_alu instid0(VALU_DEP_4) | instskip(SKIP_2) | instid1(VALU_DEP_4)
	v_not_b32_e32 v19, v13
	v_cmp_gt_i32_e64 s0, 0, v13
	v_not_b32_e32 v13, v18
	v_cmp_ne_u32_e32 vcc_lo, 0, v15
	v_lshlrev_b32_e32 v15, 28, v10
	v_ashrrev_i32_e32 v19, 31, v19
	s_delay_alu instid0(VALU_DEP_4)
	v_ashrrev_i32_e32 v13, 31, v13
	v_lshl_add_u32 v10, v10, 2, v10
	v_xor_b32_e32 v12, vcc_lo, v12
	v_cmp_gt_i32_e32 vcc_lo, 0, v18
	v_not_b32_e32 v18, v15
	v_xor_b32_e32 v19, s0, v19
	v_cmp_gt_i32_e64 s0, 0, v15
	v_and_b32_e32 v12, exec_lo, v12
	v_xor_b32_e32 v13, vcc_lo, v13
	v_ashrrev_i32_e32 v15, 31, v18
	v_mad_u64_u32 v[17:18], null, v0, s9, v[1:2]
	s_delay_alu instid0(VALU_DEP_4) | instskip(NEXT) | instid1(VALU_DEP_3)
	v_and_b32_e32 v12, v12, v19
	v_xor_b32_e32 v0, s0, v15
	s_delay_alu instid0(VALU_DEP_2) | instskip(NEXT) | instid1(VALU_DEP_4)
	v_dual_mov_b32 v13, 0 :: v_dual_and_b32 v12, v12, v13
	v_lshrrev_b32_e32 v15, 5, v17
	s_delay_alu instid0(VALU_DEP_2)
	v_and_b32_e32 v12, v12, v0
	ds_store_b32 v2, v13 offset:16
	v_add_lshl_u32 v10, v15, v10, 2
	s_waitcnt lgkmcnt(0)
	s_barrier
	v_mbcnt_lo_u32_b32 v0, v12, 0
	v_cmp_ne_u32_e64 s0, 0, v12
	buffer_gl0_inv
	; wave barrier
	v_cmp_eq_u32_e32 vcc_lo, 0, v0
	s_and_b32 s8, s0, vcc_lo
	s_delay_alu instid0(SALU_CYCLE_1)
	s_and_saveexec_b32 s0, s8
	s_cbranch_execz .LBB63_2
; %bb.1:
	v_bcnt_u32_b32 v12, v12, 0
	ds_store_b32 v10, v12 offset:16
.LBB63_2:
	s_or_b32 exec_lo, exec_lo, s0
	v_xor_b32_e32 v11, 0x80000000, v11
	; wave barrier
	s_delay_alu instid0(VALU_DEP_1) | instskip(NEXT) | instid1(VALU_DEP_1)
	v_lshlrev_b32_e32 v11, s4, v11
	v_lshrrev_b32_e32 v11, s5, v11
	s_delay_alu instid0(VALU_DEP_1) | instskip(NEXT) | instid1(VALU_DEP_1)
	v_cndmask_b32_e64 v11, v11, 0, s1
	v_and_b32_e32 v12, 1, v11
	v_lshlrev_b32_e32 v13, 30, v11
	v_lshlrev_b32_e32 v18, 29, v11
	s_delay_alu instid0(VALU_DEP_3) | instskip(NEXT) | instid1(VALU_DEP_1)
	v_add_co_u32 v12, s0, v12, -1
	v_cndmask_b32_e64 v17, 0, 1, s0
	s_delay_alu instid0(VALU_DEP_4) | instskip(SKIP_2) | instid1(VALU_DEP_4)
	v_not_b32_e32 v19, v13
	v_cmp_gt_i32_e64 s0, 0, v13
	v_not_b32_e32 v13, v18
	v_cmp_ne_u32_e32 vcc_lo, 0, v17
	v_lshlrev_b32_e32 v17, 28, v11
	v_ashrrev_i32_e32 v19, 31, v19
	s_delay_alu instid0(VALU_DEP_4)
	v_ashrrev_i32_e32 v13, 31, v13
	v_lshl_add_u32 v11, v11, 2, v11
	v_xor_b32_e32 v12, vcc_lo, v12
	v_cmp_gt_i32_e32 vcc_lo, 0, v18
	v_not_b32_e32 v18, v17
	v_xor_b32_e32 v19, s0, v19
	v_cmp_gt_i32_e64 s0, 0, v17
	v_and_b32_e32 v12, exec_lo, v12
	v_xor_b32_e32 v13, vcc_lo, v13
	v_ashrrev_i32_e32 v17, 31, v18
	s_delay_alu instid0(VALU_DEP_3) | instskip(SKIP_1) | instid1(VALU_DEP_3)
	v_and_b32_e32 v18, v12, v19
	v_add_lshl_u32 v12, v15, v11, 2
	v_xor_b32_e32 v17, s0, v17
	s_delay_alu instid0(VALU_DEP_3) | instskip(SKIP_2) | instid1(VALU_DEP_1)
	v_and_b32_e32 v13, v18, v13
	ds_load_b32 v11, v12 offset:16
	; wave barrier
	v_and_b32_e32 v17, v13, v17
	v_mbcnt_lo_u32_b32 v13, v17, 0
	v_cmp_ne_u32_e64 s0, 0, v17
	s_delay_alu instid0(VALU_DEP_2) | instskip(NEXT) | instid1(VALU_DEP_2)
	v_cmp_eq_u32_e32 vcc_lo, 0, v13
	s_and_b32 s8, s0, vcc_lo
	s_delay_alu instid0(SALU_CYCLE_1)
	s_and_saveexec_b32 s0, s8
	s_cbranch_execz .LBB63_4
; %bb.3:
	s_waitcnt lgkmcnt(0)
	v_bcnt_u32_b32 v17, v17, v11
	ds_store_b32 v12, v17 offset:16
.LBB63_4:
	s_or_b32 exec_lo, exec_lo, s0
	v_xor_b32_e32 v16, 0x80000000, v16
	; wave barrier
	s_delay_alu instid0(VALU_DEP_1) | instskip(NEXT) | instid1(VALU_DEP_1)
	v_lshlrev_b32_e32 v16, s4, v16
	v_lshrrev_b32_e32 v16, s5, v16
	s_delay_alu instid0(VALU_DEP_1) | instskip(NEXT) | instid1(VALU_DEP_1)
	v_cndmask_b32_e64 v16, v16, 0, s1
	v_and_b32_e32 v17, 1, v16
	v_lshlrev_b32_e32 v18, 30, v16
	v_lshlrev_b32_e32 v20, 29, v16
	s_delay_alu instid0(VALU_DEP_3) | instskip(NEXT) | instid1(VALU_DEP_1)
	v_add_co_u32 v17, s0, v17, -1
	v_cndmask_b32_e64 v19, 0, 1, s0
	s_delay_alu instid0(VALU_DEP_4) | instskip(SKIP_2) | instid1(VALU_DEP_4)
	v_not_b32_e32 v21, v18
	v_cmp_gt_i32_e64 s0, 0, v18
	v_not_b32_e32 v18, v20
	v_cmp_ne_u32_e32 vcc_lo, 0, v19
	v_lshlrev_b32_e32 v19, 28, v16
	v_ashrrev_i32_e32 v21, 31, v21
	s_delay_alu instid0(VALU_DEP_4)
	v_ashrrev_i32_e32 v18, 31, v18
	v_lshl_add_u32 v16, v16, 2, v16
	v_xor_b32_e32 v17, vcc_lo, v17
	v_cmp_gt_i32_e32 vcc_lo, 0, v20
	v_not_b32_e32 v20, v19
	v_xor_b32_e32 v21, s0, v21
	v_cmp_gt_i32_e64 s0, 0, v19
	v_and_b32_e32 v17, exec_lo, v17
	v_xor_b32_e32 v18, vcc_lo, v18
	v_ashrrev_i32_e32 v19, 31, v20
	s_delay_alu instid0(VALU_DEP_3) | instskip(SKIP_1) | instid1(VALU_DEP_3)
	v_and_b32_e32 v20, v17, v21
	v_add_lshl_u32 v17, v15, v16, 2
	v_xor_b32_e32 v19, s0, v19
	s_delay_alu instid0(VALU_DEP_3) | instskip(SKIP_2) | instid1(VALU_DEP_1)
	v_and_b32_e32 v18, v20, v18
	ds_load_b32 v16, v17 offset:16
	; wave barrier
	v_and_b32_e32 v19, v18, v19
	v_mbcnt_lo_u32_b32 v18, v19, 0
	v_cmp_ne_u32_e64 s0, 0, v19
	s_delay_alu instid0(VALU_DEP_2) | instskip(NEXT) | instid1(VALU_DEP_2)
	v_cmp_eq_u32_e32 vcc_lo, 0, v18
	s_and_b32 s8, s0, vcc_lo
	s_delay_alu instid0(SALU_CYCLE_1)
	s_and_saveexec_b32 s0, s8
	s_cbranch_execz .LBB63_6
; %bb.5:
	s_waitcnt lgkmcnt(0)
	v_bcnt_u32_b32 v19, v19, v16
	ds_store_b32 v17, v19 offset:16
.LBB63_6:
	s_or_b32 exec_lo, exec_lo, s0
	v_xor_b32_e32 v14, 0x80000000, v14
	; wave barrier
	s_delay_alu instid0(VALU_DEP_1) | instskip(NEXT) | instid1(VALU_DEP_1)
	v_lshlrev_b32_e32 v14, s4, v14
	v_lshrrev_b32_e32 v14, s5, v14
	s_delay_alu instid0(VALU_DEP_1) | instskip(NEXT) | instid1(VALU_DEP_1)
	v_cndmask_b32_e64 v14, v14, 0, s1
	v_and_b32_e32 v19, 1, v14
	v_lshlrev_b32_e32 v20, 30, v14
	v_lshlrev_b32_e32 v22, 29, v14
	s_delay_alu instid0(VALU_DEP_3) | instskip(NEXT) | instid1(VALU_DEP_1)
	v_add_co_u32 v19, s0, v19, -1
	v_cndmask_b32_e64 v21, 0, 1, s0
	s_delay_alu instid0(VALU_DEP_4) | instskip(SKIP_2) | instid1(VALU_DEP_4)
	v_not_b32_e32 v23, v20
	v_cmp_gt_i32_e64 s0, 0, v20
	v_not_b32_e32 v20, v22
	v_cmp_ne_u32_e32 vcc_lo, 0, v21
	v_lshlrev_b32_e32 v21, 28, v14
	v_ashrrev_i32_e32 v23, 31, v23
	s_delay_alu instid0(VALU_DEP_4)
	v_ashrrev_i32_e32 v20, 31, v20
	v_lshl_add_u32 v14, v14, 2, v14
	v_xor_b32_e32 v19, vcc_lo, v19
	v_cmp_gt_i32_e32 vcc_lo, 0, v22
	v_not_b32_e32 v22, v21
	v_xor_b32_e32 v23, s0, v23
	v_cmp_gt_i32_e64 s0, 0, v21
	v_and_b32_e32 v19, exec_lo, v19
	v_xor_b32_e32 v20, vcc_lo, v20
	v_ashrrev_i32_e32 v21, 31, v22
	v_add_lshl_u32 v15, v15, v14, 2
	s_delay_alu instid0(VALU_DEP_4) | instskip(NEXT) | instid1(VALU_DEP_3)
	v_and_b32_e32 v19, v19, v23
	v_xor_b32_e32 v21, s0, v21
	ds_load_b32 v14, v15 offset:16
	v_and_b32_e32 v19, v19, v20
	; wave barrier
	s_delay_alu instid0(VALU_DEP_1) | instskip(NEXT) | instid1(VALU_DEP_1)
	v_and_b32_e32 v20, v19, v21
	v_mbcnt_lo_u32_b32 v19, v20, 0
	v_cmp_ne_u32_e64 s0, 0, v20
	s_delay_alu instid0(VALU_DEP_2) | instskip(NEXT) | instid1(VALU_DEP_2)
	v_cmp_eq_u32_e32 vcc_lo, 0, v19
	s_and_b32 s1, s0, vcc_lo
	s_delay_alu instid0(SALU_CYCLE_1)
	s_and_saveexec_b32 s0, s1
	s_cbranch_execz .LBB63_8
; %bb.7:
	s_waitcnt lgkmcnt(0)
	v_bcnt_u32_b32 v20, v20, v14
	ds_store_b32 v15, v20 offset:16
.LBB63_8:
	s_or_b32 exec_lo, exec_lo, s0
	; wave barrier
	s_waitcnt lgkmcnt(0)
	s_barrier
	buffer_gl0_inv
	ds_load_b32 v20, v2 offset:16
	v_min_u32_e32 v9, 0x60, v9
	s_mov_b32 s0, exec_lo
	s_delay_alu instid0(VALU_DEP_1) | instskip(SKIP_3) | instid1(VALU_DEP_1)
	v_or_b32_e32 v23, 31, v9
	s_waitcnt lgkmcnt(0)
	v_mov_b32_dpp v22, v20 row_shr:1 row_mask:0xf bank_mask:0xf
	v_and_b32_e32 v21, 15, v5
	v_cmp_ne_u32_e32 vcc_lo, 0, v21
	s_delay_alu instid0(VALU_DEP_3) | instskip(SKIP_1) | instid1(VALU_DEP_2)
	v_cndmask_b32_e32 v22, 0, v22, vcc_lo
	v_cmp_lt_u32_e32 vcc_lo, 1, v21
	v_add_nc_u32_e32 v20, v22, v20
	s_delay_alu instid0(VALU_DEP_1) | instskip(NEXT) | instid1(VALU_DEP_1)
	v_mov_b32_dpp v22, v20 row_shr:2 row_mask:0xf bank_mask:0xf
	v_cndmask_b32_e32 v22, 0, v22, vcc_lo
	v_cmp_lt_u32_e32 vcc_lo, 3, v21
	s_delay_alu instid0(VALU_DEP_2) | instskip(NEXT) | instid1(VALU_DEP_1)
	v_add_nc_u32_e32 v20, v20, v22
	v_mov_b32_dpp v22, v20 row_shr:4 row_mask:0xf bank_mask:0xf
	s_delay_alu instid0(VALU_DEP_1) | instskip(SKIP_1) | instid1(VALU_DEP_2)
	v_cndmask_b32_e32 v22, 0, v22, vcc_lo
	v_cmp_lt_u32_e32 vcc_lo, 7, v21
	v_add_nc_u32_e32 v20, v20, v22
	s_delay_alu instid0(VALU_DEP_1) | instskip(NEXT) | instid1(VALU_DEP_1)
	v_mov_b32_dpp v22, v20 row_shr:8 row_mask:0xf bank_mask:0xf
	v_cndmask_b32_e32 v21, 0, v22, vcc_lo
	v_bfe_i32 v22, v5, 4, 1
	s_delay_alu instid0(VALU_DEP_2) | instskip(SKIP_4) | instid1(VALU_DEP_2)
	v_add_nc_u32_e32 v21, v20, v21
	ds_swizzle_b32 v20, v21 offset:swizzle(BROADCAST,32,15)
	s_waitcnt lgkmcnt(0)
	v_and_b32_e32 v22, v22, v20
	v_lshrrev_b32_e32 v20, 5, v1
	v_add_nc_u32_e32 v9, v21, v22
	v_cmpx_eq_u32_e64 v23, v1
	s_xor_b32 s0, exec_lo, s0
	s_cbranch_execz .LBB63_10
; %bb.9:
	v_lshlrev_b32_e32 v21, 2, v20
	ds_store_b32 v21, v9
.LBB63_10:
	s_or_b32 exec_lo, exec_lo, s0
	s_delay_alu instid0(SALU_CYCLE_1)
	s_mov_b32 s0, exec_lo
	s_waitcnt lgkmcnt(0)
	s_barrier
	buffer_gl0_inv
	v_cmpx_gt_u32_e32 4, v1
	s_cbranch_execz .LBB63_12
; %bb.11:
	ds_load_b32 v21, v2
	s_waitcnt lgkmcnt(0)
	v_mov_b32_dpp v23, v21 row_shr:1 row_mask:0xf bank_mask:0xf
	v_and_b32_e32 v22, 3, v5
	s_delay_alu instid0(VALU_DEP_1) | instskip(NEXT) | instid1(VALU_DEP_3)
	v_cmp_ne_u32_e32 vcc_lo, 0, v22
	v_cndmask_b32_e32 v23, 0, v23, vcc_lo
	v_cmp_lt_u32_e32 vcc_lo, 1, v22
	s_delay_alu instid0(VALU_DEP_2) | instskip(NEXT) | instid1(VALU_DEP_1)
	v_add_nc_u32_e32 v21, v23, v21
	v_mov_b32_dpp v23, v21 row_shr:2 row_mask:0xf bank_mask:0xf
	s_delay_alu instid0(VALU_DEP_1) | instskip(NEXT) | instid1(VALU_DEP_1)
	v_cndmask_b32_e32 v22, 0, v23, vcc_lo
	v_add_nc_u32_e32 v21, v21, v22
	ds_store_b32 v2, v21
.LBB63_12:
	s_or_b32 exec_lo, exec_lo, s0
	v_cmp_lt_u32_e32 vcc_lo, 31, v1
	v_mov_b32_e32 v1, 0
	s_waitcnt lgkmcnt(0)
	s_barrier
	buffer_gl0_inv
	s_and_saveexec_b32 s0, vcc_lo
	s_cbranch_execz .LBB63_14
; %bb.13:
	v_lshl_add_u32 v1, v20, 2, -4
	ds_load_b32 v1, v1
.LBB63_14:
	s_or_b32 exec_lo, exec_lo, s0
	v_add_nc_u32_e32 v20, -1, v5
	s_waitcnt lgkmcnt(0)
	v_add_nc_u32_e32 v9, v1, v9
	s_add_u32 s0, s6, s2
	s_addc_u32 s1, s7, s3
	v_cmp_gt_i32_e32 vcc_lo, 0, v20
	v_cndmask_b32_e32 v20, v20, v5, vcc_lo
	v_cmp_eq_u32_e32 vcc_lo, 0, v5
	s_delay_alu instid0(VALU_DEP_2)
	v_lshlrev_b32_e32 v20, 2, v20
	ds_bpermute_b32 v9, v20, v9
	s_waitcnt lgkmcnt(0)
	v_cndmask_b32_e32 v1, v9, v1, vcc_lo
	ds_store_b32 v2, v1 offset:16
	s_waitcnt lgkmcnt(0)
	s_barrier
	buffer_gl0_inv
	ds_load_b32 v1, v10 offset:16
	ds_load_b32 v5, v12 offset:16
	;; [unrolled: 1-line block ×4, first 2 shown]
	s_waitcnt lgkmcnt(0)
	s_barrier
	buffer_gl0_inv
	v_add_nc_u32_e32 v0, v1, v0
	v_add3_u32 v1, v13, v11, v5
	v_add3_u32 v5, v18, v16, v9
	;; [unrolled: 1-line block ×3, first 2 shown]
	ds_store_b32 v4, v0
	ds_store_b32 v6, v1
	;; [unrolled: 1-line block ×4, first 2 shown]
	; wave barrier
	ds_load_2addr_b32 v[4:5], v3 offset1:1
	ds_load_2addr_b32 v[6:7], v3 offset0:2 offset1:3
	v_lshlrev_b32_e32 v0, 2, v2
	s_waitcnt lgkmcnt(0)
	global_store_b128 v0, v[4:7], s[0:1]
	s_nop 0
	s_sendmsg sendmsg(MSG_DEALLOC_VGPRS)
	s_endpgm
	.section	.rodata,"a",@progbits
	.p2align	6, 0x0
	.amdhsa_kernel _Z11rank_kernelILj128ELj4ELj4ELb0EL18RadixRankAlgorithm2EiEvPKT4_Pijj
		.amdhsa_group_segment_fixed_size 2112
		.amdhsa_private_segment_fixed_size 0
		.amdhsa_kernarg_size 280
		.amdhsa_user_sgpr_count 15
		.amdhsa_user_sgpr_dispatch_ptr 0
		.amdhsa_user_sgpr_queue_ptr 0
		.amdhsa_user_sgpr_kernarg_segment_ptr 1
		.amdhsa_user_sgpr_dispatch_id 0
		.amdhsa_user_sgpr_private_segment_size 0
		.amdhsa_wavefront_size32 1
		.amdhsa_uses_dynamic_stack 0
		.amdhsa_enable_private_segment 0
		.amdhsa_system_sgpr_workgroup_id_x 1
		.amdhsa_system_sgpr_workgroup_id_y 0
		.amdhsa_system_sgpr_workgroup_id_z 0
		.amdhsa_system_sgpr_workgroup_info 0
		.amdhsa_system_vgpr_workitem_id 2
		.amdhsa_next_free_vgpr 24
		.amdhsa_next_free_sgpr 16
		.amdhsa_reserve_vcc 1
		.amdhsa_float_round_mode_32 0
		.amdhsa_float_round_mode_16_64 0
		.amdhsa_float_denorm_mode_32 3
		.amdhsa_float_denorm_mode_16_64 3
		.amdhsa_dx10_clamp 1
		.amdhsa_ieee_mode 1
		.amdhsa_fp16_overflow 0
		.amdhsa_workgroup_processor_mode 1
		.amdhsa_memory_ordered 1
		.amdhsa_forward_progress 0
		.amdhsa_shared_vgpr_count 0
		.amdhsa_exception_fp_ieee_invalid_op 0
		.amdhsa_exception_fp_denorm_src 0
		.amdhsa_exception_fp_ieee_div_zero 0
		.amdhsa_exception_fp_ieee_overflow 0
		.amdhsa_exception_fp_ieee_underflow 0
		.amdhsa_exception_fp_ieee_inexact 0
		.amdhsa_exception_int_div_zero 0
	.end_amdhsa_kernel
	.section	.text._Z11rank_kernelILj128ELj4ELj4ELb0EL18RadixRankAlgorithm2EiEvPKT4_Pijj,"axG",@progbits,_Z11rank_kernelILj128ELj4ELj4ELb0EL18RadixRankAlgorithm2EiEvPKT4_Pijj,comdat
.Lfunc_end63:
	.size	_Z11rank_kernelILj128ELj4ELj4ELb0EL18RadixRankAlgorithm2EiEvPKT4_Pijj, .Lfunc_end63-_Z11rank_kernelILj128ELj4ELj4ELb0EL18RadixRankAlgorithm2EiEvPKT4_Pijj
                                        ; -- End function
	.section	.AMDGPU.csdata,"",@progbits
; Kernel info:
; codeLenInByte = 1996
; NumSgprs: 18
; NumVgprs: 24
; ScratchSize: 0
; MemoryBound: 0
; FloatMode: 240
; IeeeMode: 1
; LDSByteSize: 2112 bytes/workgroup (compile time only)
; SGPRBlocks: 2
; VGPRBlocks: 2
; NumSGPRsForWavesPerEU: 18
; NumVGPRsForWavesPerEU: 24
; Occupancy: 16
; WaveLimiterHint : 0
; COMPUTE_PGM_RSRC2:SCRATCH_EN: 0
; COMPUTE_PGM_RSRC2:USER_SGPR: 15
; COMPUTE_PGM_RSRC2:TRAP_HANDLER: 0
; COMPUTE_PGM_RSRC2:TGID_X_EN: 1
; COMPUTE_PGM_RSRC2:TGID_Y_EN: 0
; COMPUTE_PGM_RSRC2:TGID_Z_EN: 0
; COMPUTE_PGM_RSRC2:TIDIG_COMP_CNT: 2
	.section	.text._Z11rank_kernelILj64ELj2ELj4ELb1EL18RadixRankAlgorithm2EyEvPKT4_Pijj,"axG",@progbits,_Z11rank_kernelILj64ELj2ELj4ELb1EL18RadixRankAlgorithm2EyEvPKT4_Pijj,comdat
	.protected	_Z11rank_kernelILj64ELj2ELj4ELb1EL18RadixRankAlgorithm2EyEvPKT4_Pijj ; -- Begin function _Z11rank_kernelILj64ELj2ELj4ELb1EL18RadixRankAlgorithm2EyEvPKT4_Pijj
	.globl	_Z11rank_kernelILj64ELj2ELj4ELb1EL18RadixRankAlgorithm2EyEvPKT4_Pijj
	.p2align	8
	.type	_Z11rank_kernelILj64ELj2ELj4ELb1EL18RadixRankAlgorithm2EyEvPKT4_Pijj,@function
_Z11rank_kernelILj64ELj2ELj4ELb1EL18RadixRankAlgorithm2EyEvPKT4_Pijj: ; @_Z11rank_kernelILj64ELj2ELj4ELb1EL18RadixRankAlgorithm2EyEvPKT4_Pijj
; %bb.0:
	v_and_b32_e32 v1, 0x3ff, v0
	s_clause 0x1
	s_load_b128 s[4:7], s[0:1], 0x0
	s_load_b64 s[8:9], s[0:1], 0x10
	v_mbcnt_lo_u32_b32 v7, -1, 0
	s_mov_b32 s3, 0
	v_lshlrev_b32_e32 v6, 1, v1
	s_lshl_b32 s2, s15, 7
	s_delay_alu instid0(SALU_CYCLE_1) | instskip(NEXT) | instid1(VALU_DEP_1)
	s_lshl_b64 s[10:11], s[2:3], 3
	v_and_b32_e32 v8, 64, v6
	s_delay_alu instid0(VALU_DEP_1) | instskip(SKIP_1) | instid1(VALU_DEP_2)
	v_or_b32_e32 v10, v7, v8
	v_lshrrev_b32_e32 v14, 5, v8
	v_or_b32_e32 v13, 32, v10
	s_delay_alu instid0(VALU_DEP_2)
	v_add_nc_u32_e32 v10, v14, v10
	v_mov_b32_e32 v14, 0
	v_lshlrev_b32_e32 v2, 4, v1
	s_waitcnt lgkmcnt(0)
	s_add_u32 s4, s4, s10
	s_addc_u32 s5, s5, s11
	v_and_b32_e32 v12, 32, v1
	v_lshrrev_b32_e32 v15, 5, v13
	global_load_b128 v[2:5], v2, s[4:5]
	s_load_b32 s4, s[0:1], 0x24
	s_and_b32 s1, s9, 63
	v_or_b32_e32 v9, v7, v12
	s_delay_alu instid0(VALU_DEP_1) | instskip(SKIP_1) | instid1(VALU_DEP_1)
	v_lshlrev_b32_e32 v11, 1, v9
	v_bfe_u32 v9, v9, 4, 27
	v_add_nc_u32_e32 v8, v9, v11
	v_add_nc_u32_e32 v9, v15, v13
	v_lshlrev_b32_e32 v13, 3, v10
	s_delay_alu instid0(VALU_DEP_3) | instskip(NEXT) | instid1(VALU_DEP_3)
	v_lshlrev_b32_e32 v11, 3, v8
	v_lshlrev_b32_e32 v15, 3, v9
	s_waitcnt lgkmcnt(0)
	s_lshr_b32 s0, s4, 16
	s_cmp_lg_u32 s1, 0
	s_cselect_b32 s5, -1, 0
	s_delay_alu instid0(SALU_CYCLE_1)
	s_and_b32 vcc_lo, exec_lo, s5
	s_waitcnt vmcnt(0)
	ds_store_2addr_b64 v11, v[2:3], v[4:5] offset1:1
	; wave barrier
	ds_load_b64 v[4:5], v13
	ds_load_b64 v[2:3], v15
	v_bfe_u32 v13, v0, 20, 10
	v_lshlrev_b32_e32 v11, 2, v1
	v_bfe_u32 v0, v0, 10, 10
	s_waitcnt lgkmcnt(0)
	s_barrier
	v_mul_u32_u24_e32 v13, s0, v13
	buffer_gl0_inv
	ds_store_b32 v11, v14 offset:8
	s_waitcnt lgkmcnt(0)
	s_barrier
	buffer_gl0_inv
	s_cbranch_vccz .LBB64_2
; %bb.1:
	s_and_b32 s0, s8, 63
	s_delay_alu instid0(SALU_CYCLE_1) | instskip(NEXT) | instid1(SALU_CYCLE_1)
	s_add_i32 s0, s0, s1
	s_sub_i32 s0, 64, s0
	s_delay_alu instid0(SALU_CYCLE_1)
	v_lshlrev_b64 v[4:5], s0, v[4:5]
	s_sub_i32 s0, 64, s1
	s_delay_alu instid0(VALU_DEP_1) | instid1(SALU_CYCLE_1)
	v_lshrrev_b64 v[4:5], s0, v[4:5]
	s_delay_alu instid0(VALU_DEP_1)
	v_xor_b32_e32 v4, 15, v4
	s_branch .LBB64_3
.LBB64_2:
	v_mov_b32_e32 v4, 15
.LBB64_3:
	s_delay_alu instid0(VALU_DEP_1) | instskip(SKIP_3) | instid1(VALU_DEP_4)
	v_and_b32_e32 v5, 1, v4
	v_lshlrev_b32_e32 v14, 30, v4
	v_lshlrev_b32_e32 v16, 29, v4
	v_add_nc_u32_e32 v0, v13, v0
	v_add_co_u32 v5, s0, v5, -1
	s_delay_alu instid0(VALU_DEP_1) | instskip(SKIP_3) | instid1(VALU_DEP_4)
	v_cndmask_b32_e64 v15, 0, 1, s0
	v_not_b32_e32 v17, v14
	v_cmp_gt_i32_e64 s0, 0, v14
	v_not_b32_e32 v14, v16
	; wave barrier
	v_cmp_ne_u32_e32 vcc_lo, 0, v15
	v_lshlrev_b32_e32 v15, 28, v4
	v_ashrrev_i32_e32 v17, 31, v17
	s_delay_alu instid0(VALU_DEP_4)
	v_ashrrev_i32_e32 v14, 31, v14
	v_lshl_add_u32 v4, v4, 1, v4
	v_xor_b32_e32 v5, vcc_lo, v5
	v_cmp_gt_i32_e32 vcc_lo, 0, v16
	v_not_b32_e32 v16, v15
	v_xor_b32_e32 v17, s0, v17
	v_cmp_gt_i32_e64 s0, 0, v15
	v_and_b32_e32 v5, exec_lo, v5
	v_xor_b32_e32 v14, vcc_lo, v14
	v_ashrrev_i32_e32 v15, 31, v16
	s_delay_alu instid0(VALU_DEP_3) | instskip(NEXT) | instid1(VALU_DEP_2)
	v_and_b32_e32 v5, v5, v17
	v_xor_b32_e32 v13, s0, v15
	s_and_b32 s0, s4, 0xffff
	s_delay_alu instid0(VALU_DEP_2) | instskip(SKIP_1) | instid1(VALU_DEP_2)
	v_and_b32_e32 v5, v5, v14
	v_mad_u64_u32 v[14:15], null, v0, s0, v[1:2]
	v_and_b32_e32 v13, v5, v13
	s_delay_alu instid0(VALU_DEP_2) | instskip(NEXT) | instid1(VALU_DEP_2)
	v_lshrrev_b32_e32 v5, 5, v14
	v_mbcnt_lo_u32_b32 v0, v13, 0
	v_cmp_ne_u32_e64 s0, 0, v13
	s_delay_alu instid0(VALU_DEP_3) | instskip(NEXT) | instid1(VALU_DEP_3)
	v_add_lshl_u32 v4, v4, v5, 2
	v_cmp_eq_u32_e32 vcc_lo, 0, v0
	s_delay_alu instid0(VALU_DEP_3) | instskip(NEXT) | instid1(SALU_CYCLE_1)
	s_and_b32 s4, s0, vcc_lo
	s_and_saveexec_b32 s0, s4
	s_cbranch_execz .LBB64_5
; %bb.4:
	v_bcnt_u32_b32 v13, v13, 0
	ds_store_b32 v4, v13 offset:8
.LBB64_5:
	s_or_b32 exec_lo, exec_lo, s0
	s_delay_alu instid0(SALU_CYCLE_1)
	s_and_not1_b32 vcc_lo, exec_lo, s5
	; wave barrier
	s_cbranch_vccnz .LBB64_7
; %bb.6:
	s_and_b32 s0, s8, 63
	s_delay_alu instid0(SALU_CYCLE_1) | instskip(NEXT) | instid1(SALU_CYCLE_1)
	s_add_i32 s0, s0, s1
	s_sub_i32 s0, 64, s0
	s_delay_alu instid0(SALU_CYCLE_1)
	v_lshlrev_b64 v[2:3], s0, v[2:3]
	s_sub_i32 s0, 64, s1
	s_delay_alu instid0(VALU_DEP_1) | instid1(SALU_CYCLE_1)
	v_lshrrev_b64 v[2:3], s0, v[2:3]
	s_delay_alu instid0(VALU_DEP_1)
	v_xor_b32_e32 v2, 15, v2
	s_branch .LBB64_8
.LBB64_7:
	v_mov_b32_e32 v2, 15
.LBB64_8:
	s_delay_alu instid0(VALU_DEP_1) | instskip(SKIP_2) | instid1(VALU_DEP_3)
	v_and_b32_e32 v3, 1, v2
	v_lshlrev_b32_e32 v13, 30, v2
	v_lshlrev_b32_e32 v15, 29, v2
	v_add_co_u32 v3, s0, v3, -1
	s_delay_alu instid0(VALU_DEP_1) | instskip(NEXT) | instid1(VALU_DEP_4)
	v_cndmask_b32_e64 v14, 0, 1, s0
	v_not_b32_e32 v16, v13
	v_cmp_gt_i32_e64 s0, 0, v13
	v_not_b32_e32 v13, v15
	s_delay_alu instid0(VALU_DEP_4) | instskip(SKIP_2) | instid1(VALU_DEP_4)
	v_cmp_ne_u32_e32 vcc_lo, 0, v14
	v_lshlrev_b32_e32 v14, 28, v2
	v_ashrrev_i32_e32 v16, 31, v16
	v_ashrrev_i32_e32 v13, 31, v13
	v_lshl_add_u32 v2, v2, 1, v2
	v_xor_b32_e32 v3, vcc_lo, v3
	v_cmp_gt_i32_e32 vcc_lo, 0, v15
	v_not_b32_e32 v15, v14
	v_xor_b32_e32 v16, s0, v16
	v_cmp_gt_i32_e64 s0, 0, v14
	v_and_b32_e32 v3, exec_lo, v3
	v_xor_b32_e32 v13, vcc_lo, v13
	v_ashrrev_i32_e32 v14, 31, v15
	v_add_lshl_u32 v5, v2, v5, 2
	s_delay_alu instid0(VALU_DEP_4) | instskip(NEXT) | instid1(VALU_DEP_3)
	v_and_b32_e32 v3, v3, v16
	v_xor_b32_e32 v14, s0, v14
	ds_load_b32 v2, v5 offset:8
	v_and_b32_e32 v3, v3, v13
	; wave barrier
	s_delay_alu instid0(VALU_DEP_1) | instskip(NEXT) | instid1(VALU_DEP_1)
	v_and_b32_e32 v13, v3, v14
	v_mbcnt_lo_u32_b32 v3, v13, 0
	v_cmp_ne_u32_e64 s0, 0, v13
	s_delay_alu instid0(VALU_DEP_2) | instskip(NEXT) | instid1(VALU_DEP_2)
	v_cmp_eq_u32_e32 vcc_lo, 0, v3
	s_and_b32 s1, s0, vcc_lo
	s_delay_alu instid0(SALU_CYCLE_1)
	s_and_saveexec_b32 s0, s1
	s_cbranch_execz .LBB64_10
; %bb.9:
	s_waitcnt lgkmcnt(0)
	v_bcnt_u32_b32 v13, v13, v2
	ds_store_b32 v5, v13 offset:8
.LBB64_10:
	s_or_b32 exec_lo, exec_lo, s0
	; wave barrier
	s_waitcnt lgkmcnt(0)
	s_barrier
	buffer_gl0_inv
	ds_load_b32 v13, v11 offset:8
	v_and_b32_e32 v14, 15, v7
	v_min_u32_e32 v12, 32, v12
	s_mov_b32 s0, exec_lo
	s_delay_alu instid0(VALU_DEP_2) | instskip(NEXT) | instid1(VALU_DEP_2)
	v_cmp_ne_u32_e32 vcc_lo, 0, v14
	v_or_b32_e32 v16, 31, v12
	s_waitcnt lgkmcnt(0)
	v_mov_b32_dpp v15, v13 row_shr:1 row_mask:0xf bank_mask:0xf
	s_delay_alu instid0(VALU_DEP_1) | instskip(SKIP_1) | instid1(VALU_DEP_2)
	v_cndmask_b32_e32 v15, 0, v15, vcc_lo
	v_cmp_lt_u32_e32 vcc_lo, 1, v14
	v_add_nc_u32_e32 v13, v15, v13
	s_delay_alu instid0(VALU_DEP_1) | instskip(NEXT) | instid1(VALU_DEP_1)
	v_mov_b32_dpp v15, v13 row_shr:2 row_mask:0xf bank_mask:0xf
	v_cndmask_b32_e32 v15, 0, v15, vcc_lo
	v_cmp_lt_u32_e32 vcc_lo, 3, v14
	s_delay_alu instid0(VALU_DEP_2) | instskip(NEXT) | instid1(VALU_DEP_1)
	v_add_nc_u32_e32 v13, v13, v15
	v_mov_b32_dpp v15, v13 row_shr:4 row_mask:0xf bank_mask:0xf
	s_delay_alu instid0(VALU_DEP_1) | instskip(SKIP_1) | instid1(VALU_DEP_2)
	v_cndmask_b32_e32 v15, 0, v15, vcc_lo
	v_cmp_lt_u32_e32 vcc_lo, 7, v14
	v_add_nc_u32_e32 v13, v13, v15
	s_delay_alu instid0(VALU_DEP_1) | instskip(NEXT) | instid1(VALU_DEP_1)
	v_mov_b32_dpp v15, v13 row_shr:8 row_mask:0xf bank_mask:0xf
	v_cndmask_b32_e32 v14, 0, v15, vcc_lo
	v_bfe_i32 v15, v7, 4, 1
	s_delay_alu instid0(VALU_DEP_2) | instskip(SKIP_4) | instid1(VALU_DEP_2)
	v_add_nc_u32_e32 v14, v13, v14
	ds_swizzle_b32 v13, v14 offset:swizzle(BROADCAST,32,15)
	s_waitcnt lgkmcnt(0)
	v_and_b32_e32 v15, v15, v13
	v_lshrrev_b32_e32 v13, 5, v1
	v_add_nc_u32_e32 v12, v14, v15
	v_cmpx_eq_u32_e64 v16, v1
	s_xor_b32 s0, exec_lo, s0
	s_cbranch_execz .LBB64_12
; %bb.11:
	v_lshlrev_b32_e32 v14, 2, v13
	ds_store_b32 v14, v12
.LBB64_12:
	s_or_b32 exec_lo, exec_lo, s0
	s_delay_alu instid0(SALU_CYCLE_1)
	s_mov_b32 s0, exec_lo
	s_waitcnt lgkmcnt(0)
	s_barrier
	buffer_gl0_inv
	v_cmpx_gt_u32_e32 2, v1
	s_cbranch_execz .LBB64_14
; %bb.13:
	ds_load_b32 v14, v11
	v_bfe_i32 v15, v7, 0, 1
	s_waitcnt lgkmcnt(0)
	v_mov_b32_dpp v16, v14 row_shr:1 row_mask:0xf bank_mask:0xf
	s_delay_alu instid0(VALU_DEP_1) | instskip(NEXT) | instid1(VALU_DEP_1)
	v_and_b32_e32 v15, v15, v16
	v_add_nc_u32_e32 v14, v15, v14
	ds_store_b32 v11, v14
.LBB64_14:
	s_or_b32 exec_lo, exec_lo, s0
	v_cmp_lt_u32_e32 vcc_lo, 31, v1
	v_mov_b32_e32 v1, 0
	s_waitcnt lgkmcnt(0)
	s_barrier
	buffer_gl0_inv
	s_and_saveexec_b32 s0, vcc_lo
	s_cbranch_execz .LBB64_16
; %bb.15:
	v_lshl_add_u32 v1, v13, 2, -4
	ds_load_b32 v1, v1
.LBB64_16:
	s_or_b32 exec_lo, exec_lo, s0
	v_add_nc_u32_e32 v13, -1, v7
	s_waitcnt lgkmcnt(0)
	v_add_nc_u32_e32 v12, v1, v12
	s_lshl_b64 s[0:1], s[2:3], 2
	v_lshlrev_b32_e32 v8, 2, v8
	s_add_u32 s0, s6, s0
	v_cmp_gt_i32_e32 vcc_lo, 0, v13
	s_addc_u32 s1, s7, s1
	v_cndmask_b32_e32 v13, v13, v7, vcc_lo
	v_cmp_eq_u32_e32 vcc_lo, 0, v7
	v_lshlrev_b32_e32 v7, 2, v9
	s_delay_alu instid0(VALU_DEP_3)
	v_lshlrev_b32_e32 v13, 2, v13
	ds_bpermute_b32 v12, v13, v12
	s_waitcnt lgkmcnt(0)
	v_cndmask_b32_e32 v1, v12, v1, vcc_lo
	ds_store_b32 v11, v1 offset:8
	s_waitcnt lgkmcnt(0)
	s_barrier
	buffer_gl0_inv
	ds_load_b32 v1, v4 offset:8
	ds_load_b32 v4, v5 offset:8
	v_lshlrev_b32_e32 v5, 2, v10
	s_waitcnt lgkmcnt(0)
	s_barrier
	buffer_gl0_inv
	v_add_nc_u32_e32 v0, v1, v0
	v_add3_u32 v1, v3, v2, v4
	v_lshlrev_b32_e32 v2, 2, v6
	ds_store_b32 v5, v0
	ds_store_b32 v7, v1
	; wave barrier
	ds_load_2addr_b32 v[0:1], v8 offset1:1
	s_waitcnt lgkmcnt(0)
	global_store_b64 v2, v[0:1], s[0:1]
	s_nop 0
	s_sendmsg sendmsg(MSG_DEALLOC_VGPRS)
	s_endpgm
	.section	.rodata,"a",@progbits
	.p2align	6, 0x0
	.amdhsa_kernel _Z11rank_kernelILj64ELj2ELj4ELb1EL18RadixRankAlgorithm2EyEvPKT4_Pijj
		.amdhsa_group_segment_fixed_size 1056
		.amdhsa_private_segment_fixed_size 0
		.amdhsa_kernarg_size 280
		.amdhsa_user_sgpr_count 15
		.amdhsa_user_sgpr_dispatch_ptr 0
		.amdhsa_user_sgpr_queue_ptr 0
		.amdhsa_user_sgpr_kernarg_segment_ptr 1
		.amdhsa_user_sgpr_dispatch_id 0
		.amdhsa_user_sgpr_private_segment_size 0
		.amdhsa_wavefront_size32 1
		.amdhsa_uses_dynamic_stack 0
		.amdhsa_enable_private_segment 0
		.amdhsa_system_sgpr_workgroup_id_x 1
		.amdhsa_system_sgpr_workgroup_id_y 0
		.amdhsa_system_sgpr_workgroup_id_z 0
		.amdhsa_system_sgpr_workgroup_info 0
		.amdhsa_system_vgpr_workitem_id 2
		.amdhsa_next_free_vgpr 18
		.amdhsa_next_free_sgpr 16
		.amdhsa_reserve_vcc 1
		.amdhsa_float_round_mode_32 0
		.amdhsa_float_round_mode_16_64 0
		.amdhsa_float_denorm_mode_32 3
		.amdhsa_float_denorm_mode_16_64 3
		.amdhsa_dx10_clamp 1
		.amdhsa_ieee_mode 1
		.amdhsa_fp16_overflow 0
		.amdhsa_workgroup_processor_mode 1
		.amdhsa_memory_ordered 1
		.amdhsa_forward_progress 0
		.amdhsa_shared_vgpr_count 0
		.amdhsa_exception_fp_ieee_invalid_op 0
		.amdhsa_exception_fp_denorm_src 0
		.amdhsa_exception_fp_ieee_div_zero 0
		.amdhsa_exception_fp_ieee_overflow 0
		.amdhsa_exception_fp_ieee_underflow 0
		.amdhsa_exception_fp_ieee_inexact 0
		.amdhsa_exception_int_div_zero 0
	.end_amdhsa_kernel
	.section	.text._Z11rank_kernelILj64ELj2ELj4ELb1EL18RadixRankAlgorithm2EyEvPKT4_Pijj,"axG",@progbits,_Z11rank_kernelILj64ELj2ELj4ELb1EL18RadixRankAlgorithm2EyEvPKT4_Pijj,comdat
.Lfunc_end64:
	.size	_Z11rank_kernelILj64ELj2ELj4ELb1EL18RadixRankAlgorithm2EyEvPKT4_Pijj, .Lfunc_end64-_Z11rank_kernelILj64ELj2ELj4ELb1EL18RadixRankAlgorithm2EyEvPKT4_Pijj
                                        ; -- End function
	.section	.AMDGPU.csdata,"",@progbits
; Kernel info:
; codeLenInByte = 1428
; NumSgprs: 18
; NumVgprs: 18
; ScratchSize: 0
; MemoryBound: 0
; FloatMode: 240
; IeeeMode: 1
; LDSByteSize: 1056 bytes/workgroup (compile time only)
; SGPRBlocks: 2
; VGPRBlocks: 2
; NumSGPRsForWavesPerEU: 18
; NumVGPRsForWavesPerEU: 18
; Occupancy: 16
; WaveLimiterHint : 0
; COMPUTE_PGM_RSRC2:SCRATCH_EN: 0
; COMPUTE_PGM_RSRC2:USER_SGPR: 15
; COMPUTE_PGM_RSRC2:TRAP_HANDLER: 0
; COMPUTE_PGM_RSRC2:TGID_X_EN: 1
; COMPUTE_PGM_RSRC2:TGID_Y_EN: 0
; COMPUTE_PGM_RSRC2:TGID_Z_EN: 0
; COMPUTE_PGM_RSRC2:TIDIG_COMP_CNT: 2
	.section	.text._Z11rank_kernelILj255ELj1ELj4ELb0EL18RadixRankAlgorithm2EhEvPKT4_Pijj,"axG",@progbits,_Z11rank_kernelILj255ELj1ELj4ELb0EL18RadixRankAlgorithm2EhEvPKT4_Pijj,comdat
	.protected	_Z11rank_kernelILj255ELj1ELj4ELb0EL18RadixRankAlgorithm2EhEvPKT4_Pijj ; -- Begin function _Z11rank_kernelILj255ELj1ELj4ELb0EL18RadixRankAlgorithm2EhEvPKT4_Pijj
	.globl	_Z11rank_kernelILj255ELj1ELj4ELb0EL18RadixRankAlgorithm2EhEvPKT4_Pijj
	.p2align	8
	.type	_Z11rank_kernelILj255ELj1ELj4ELb0EL18RadixRankAlgorithm2EhEvPKT4_Pijj,@function
_Z11rank_kernelILj255ELj1ELj4ELb0EL18RadixRankAlgorithm2EhEvPKT4_Pijj: ; @_Z11rank_kernelILj255ELj1ELj4ELb0EL18RadixRankAlgorithm2EhEvPKT4_Pijj
; %bb.0:
	s_clause 0x1
	s_load_b128 s[4:7], s[0:1], 0x0
	s_load_b64 s[8:9], s[0:1], 0x10
	s_mul_i32 s2, s15, 0xff
	v_and_b32_e32 v1, 0x3ff, v0
	v_mbcnt_lo_u32_b32 v3, -1, 0
	s_load_b32 s0, s[0:1], 0x24
	v_bfe_u32 v9, v0, 10, 10
	v_bfe_u32 v0, v0, 20, 10
	v_and_b32_e32 v4, 0xe0, v1
	s_delay_alu instid0(VALU_DEP_1)
	v_or_b32_e32 v2, v3, v4
	s_waitcnt lgkmcnt(0)
	s_add_u32 s4, s4, s2
	s_addc_u32 s5, s5, 0
	s_and_b32 s1, s9, 31
	global_load_u8 v5, v1, s[4:5]
	s_and_b32 s3, s8, 31
	s_lshr_b32 s4, s0, 16
	s_add_i32 s3, s3, s1
	v_mad_u32_u24 v0, v0, s4, v9
	s_sub_i32 s3, 32, s3
	s_waitcnt vmcnt(0)
	ds_store_b8 v2, v5
	; wave barrier
	ds_load_u8 v5, v2
	s_waitcnt lgkmcnt(0)
	s_barrier
	buffer_gl0_inv
	v_lshlrev_b32_e32 v5, s3, v5
	s_sub_i32 s3, 32, s1
	s_delay_alu instid0(VALU_DEP_1) | instid1(SALU_CYCLE_1)
	v_bfe_u32 v5, v5, s3, 8
	s_and_b32 s3, s0, 0xffff
	s_cmp_lg_u32 s1, 0
	s_cselect_b32 vcc_lo, -1, 0
	s_delay_alu instid0(VALU_DEP_1) | instskip(NEXT) | instid1(VALU_DEP_1)
	v_cndmask_b32_e32 v8, 0, v5, vcc_lo
	v_and_b32_e32 v5, 1, v8
	v_lshlrev_b32_e32 v6, 30, v8
	v_lshlrev_b32_e32 v10, 29, v8
	s_delay_alu instid0(VALU_DEP_3) | instskip(NEXT) | instid1(VALU_DEP_1)
	v_add_co_u32 v5, s0, v5, -1
	v_cndmask_b32_e64 v7, 0, 1, s0
	s_delay_alu instid0(VALU_DEP_4) | instskip(SKIP_2) | instid1(VALU_DEP_4)
	v_not_b32_e32 v11, v6
	v_cmp_gt_i32_e64 s0, 0, v6
	v_not_b32_e32 v6, v10
	v_cmp_ne_u32_e32 vcc_lo, 0, v7
	v_lshlrev_b32_e32 v7, 28, v8
	v_ashrrev_i32_e32 v11, 31, v11
	s_delay_alu instid0(VALU_DEP_4)
	v_ashrrev_i32_e32 v6, 31, v6
	v_mul_u32_u24_e32 v8, 9, v8
	v_xor_b32_e32 v5, vcc_lo, v5
	v_cmp_gt_i32_e32 vcc_lo, 0, v10
	v_not_b32_e32 v10, v7
	v_xor_b32_e32 v11, s0, v11
	v_cmp_gt_i32_e64 s0, 0, v7
	v_and_b32_e32 v5, exec_lo, v5
	v_xor_b32_e32 v9, vcc_lo, v6
	v_ashrrev_i32_e32 v7, 31, v10
	s_delay_alu instid0(VALU_DEP_3) | instskip(SKIP_1) | instid1(VALU_DEP_3)
	v_and_b32_e32 v10, v5, v11
	v_mad_u64_u32 v[5:6], null, v0, s3, v[1:2]
	v_xor_b32_e32 v0, s0, v7
	s_mov_b32 s3, 0
	s_delay_alu instid0(VALU_DEP_3) | instskip(NEXT) | instid1(VALU_DEP_1)
	v_dual_mov_b32 v9, 0 :: v_dual_and_b32 v6, v10, v9
	v_and_b32_e32 v7, v6, v0
	s_delay_alu instid0(VALU_DEP_4) | instskip(SKIP_1) | instid1(VALU_DEP_3)
	v_lshrrev_b32_e32 v6, 5, v5
	v_lshlrev_b32_e32 v0, 2, v1
	v_mbcnt_lo_u32_b32 v5, v7, 0
	v_cmp_ne_u32_e64 s0, 0, v7
	s_delay_alu instid0(VALU_DEP_4)
	v_add_lshl_u32 v6, v6, v8, 2
	ds_store_b32 v0, v9 offset:32
	s_waitcnt lgkmcnt(0)
	v_cmp_eq_u32_e32 vcc_lo, 0, v5
	s_barrier
	buffer_gl0_inv
	; wave barrier
	s_and_b32 s1, s0, vcc_lo
	s_delay_alu instid0(SALU_CYCLE_1)
	s_and_saveexec_b32 s0, s1
	s_cbranch_execz .LBB65_2
; %bb.1:
	v_bcnt_u32_b32 v7, v7, 0
	ds_store_b32 v6, v7 offset:32
.LBB65_2:
	s_or_b32 exec_lo, exec_lo, s0
	; wave barrier
	s_waitcnt lgkmcnt(0)
	s_barrier
	buffer_gl0_inv
	ds_load_b32 v7, v0 offset:32
	v_min_u32_e32 v4, 0xdf, v4
	s_mov_b32 s0, exec_lo
	s_delay_alu instid0(VALU_DEP_1) | instskip(SKIP_3) | instid1(VALU_DEP_1)
	v_add_nc_u32_e32 v10, 31, v4
	s_waitcnt lgkmcnt(0)
	v_mov_b32_dpp v9, v7 row_shr:1 row_mask:0xf bank_mask:0xf
	v_and_b32_e32 v8, 15, v3
	v_cmp_ne_u32_e32 vcc_lo, 0, v8
	s_delay_alu instid0(VALU_DEP_3) | instskip(SKIP_1) | instid1(VALU_DEP_2)
	v_cndmask_b32_e32 v9, 0, v9, vcc_lo
	v_cmp_lt_u32_e32 vcc_lo, 1, v8
	v_add_nc_u32_e32 v7, v9, v7
	s_delay_alu instid0(VALU_DEP_1) | instskip(NEXT) | instid1(VALU_DEP_1)
	v_mov_b32_dpp v9, v7 row_shr:2 row_mask:0xf bank_mask:0xf
	v_cndmask_b32_e32 v9, 0, v9, vcc_lo
	v_cmp_lt_u32_e32 vcc_lo, 3, v8
	s_delay_alu instid0(VALU_DEP_2) | instskip(NEXT) | instid1(VALU_DEP_1)
	v_add_nc_u32_e32 v7, v7, v9
	v_mov_b32_dpp v9, v7 row_shr:4 row_mask:0xf bank_mask:0xf
	s_delay_alu instid0(VALU_DEP_1) | instskip(SKIP_1) | instid1(VALU_DEP_2)
	v_cndmask_b32_e32 v9, 0, v9, vcc_lo
	v_cmp_lt_u32_e32 vcc_lo, 7, v8
	v_add_nc_u32_e32 v7, v7, v9
	s_delay_alu instid0(VALU_DEP_1) | instskip(NEXT) | instid1(VALU_DEP_1)
	v_mov_b32_dpp v9, v7 row_shr:8 row_mask:0xf bank_mask:0xf
	v_cndmask_b32_e32 v8, 0, v9, vcc_lo
	v_bfe_i32 v9, v3, 4, 1
	s_delay_alu instid0(VALU_DEP_2) | instskip(SKIP_4) | instid1(VALU_DEP_2)
	v_add_nc_u32_e32 v8, v7, v8
	ds_swizzle_b32 v7, v8 offset:swizzle(BROADCAST,32,15)
	s_waitcnt lgkmcnt(0)
	v_and_b32_e32 v9, v9, v7
	v_lshrrev_b32_e32 v7, 5, v1
	v_add_nc_u32_e32 v4, v8, v9
	v_cmpx_eq_u32_e64 v10, v1
	s_cbranch_execz .LBB65_4
; %bb.3:
	s_delay_alu instid0(VALU_DEP_3)
	v_lshlrev_b32_e32 v8, 2, v7
	ds_store_b32 v8, v4
.LBB65_4:
	s_or_b32 exec_lo, exec_lo, s0
	s_delay_alu instid0(SALU_CYCLE_1)
	s_mov_b32 s0, exec_lo
	s_waitcnt lgkmcnt(0)
	s_barrier
	buffer_gl0_inv
	v_cmpx_gt_u32_e32 8, v1
	s_cbranch_execz .LBB65_6
; %bb.5:
	ds_load_b32 v8, v0
	s_waitcnt lgkmcnt(0)
	v_mov_b32_dpp v10, v8 row_shr:1 row_mask:0xf bank_mask:0xf
	v_and_b32_e32 v9, 7, v3
	s_delay_alu instid0(VALU_DEP_1) | instskip(NEXT) | instid1(VALU_DEP_3)
	v_cmp_ne_u32_e32 vcc_lo, 0, v9
	v_cndmask_b32_e32 v10, 0, v10, vcc_lo
	v_cmp_lt_u32_e32 vcc_lo, 1, v9
	s_delay_alu instid0(VALU_DEP_2) | instskip(NEXT) | instid1(VALU_DEP_1)
	v_add_nc_u32_e32 v8, v10, v8
	v_mov_b32_dpp v10, v8 row_shr:2 row_mask:0xf bank_mask:0xf
	s_delay_alu instid0(VALU_DEP_1) | instskip(SKIP_1) | instid1(VALU_DEP_2)
	v_cndmask_b32_e32 v10, 0, v10, vcc_lo
	v_cmp_lt_u32_e32 vcc_lo, 3, v9
	v_add_nc_u32_e32 v8, v8, v10
	s_delay_alu instid0(VALU_DEP_1) | instskip(NEXT) | instid1(VALU_DEP_1)
	v_mov_b32_dpp v10, v8 row_shr:4 row_mask:0xf bank_mask:0xf
	v_cndmask_b32_e32 v9, 0, v10, vcc_lo
	s_delay_alu instid0(VALU_DEP_1)
	v_add_nc_u32_e32 v8, v8, v9
	ds_store_b32 v0, v8
.LBB65_6:
	s_or_b32 exec_lo, exec_lo, s0
	v_cmp_lt_u32_e32 vcc_lo, 31, v1
	v_mov_b32_e32 v1, 0
	s_waitcnt lgkmcnt(0)
	s_barrier
	buffer_gl0_inv
	s_and_saveexec_b32 s0, vcc_lo
	s_cbranch_execz .LBB65_8
; %bb.7:
	v_lshl_add_u32 v1, v7, 2, -4
	ds_load_b32 v1, v1
.LBB65_8:
	s_or_b32 exec_lo, exec_lo, s0
	v_add_nc_u32_e32 v7, -1, v3
	s_lshl_b64 s[0:1], s[2:3], 2
	s_waitcnt lgkmcnt(0)
	v_add_nc_u32_e32 v4, v1, v4
	s_add_u32 s0, s6, s0
	s_addc_u32 s1, s7, s1
	v_cmp_gt_i32_e32 vcc_lo, 0, v7
	v_dual_cndmask_b32 v7, v7, v3 :: v_dual_lshlrev_b32 v2, 2, v2
	v_cmp_eq_u32_e32 vcc_lo, 0, v3
	s_delay_alu instid0(VALU_DEP_2)
	v_lshlrev_b32_e32 v7, 2, v7
	ds_bpermute_b32 v4, v7, v4
	s_waitcnt lgkmcnt(0)
	v_cndmask_b32_e32 v1, v4, v1, vcc_lo
	ds_store_b32 v0, v1 offset:32
	s_waitcnt lgkmcnt(0)
	s_barrier
	buffer_gl0_inv
	ds_load_b32 v1, v6 offset:32
	s_waitcnt lgkmcnt(0)
	s_barrier
	buffer_gl0_inv
	v_add_nc_u32_e32 v1, v1, v5
	ds_store_b32 v2, v1
	; wave barrier
	ds_load_b32 v1, v2
	s_waitcnt lgkmcnt(0)
	global_store_b32 v0, v1, s[0:1]
	s_nop 0
	s_sendmsg sendmsg(MSG_DEALLOC_VGPRS)
	s_endpgm
	.section	.rodata,"a",@progbits
	.p2align	6, 0x0
	.amdhsa_kernel _Z11rank_kernelILj255ELj1ELj4ELb0EL18RadixRankAlgorithm2EhEvPKT4_Pijj
		.amdhsa_group_segment_fixed_size 1056
		.amdhsa_private_segment_fixed_size 0
		.amdhsa_kernarg_size 280
		.amdhsa_user_sgpr_count 15
		.amdhsa_user_sgpr_dispatch_ptr 0
		.amdhsa_user_sgpr_queue_ptr 0
		.amdhsa_user_sgpr_kernarg_segment_ptr 1
		.amdhsa_user_sgpr_dispatch_id 0
		.amdhsa_user_sgpr_private_segment_size 0
		.amdhsa_wavefront_size32 1
		.amdhsa_uses_dynamic_stack 0
		.amdhsa_enable_private_segment 0
		.amdhsa_system_sgpr_workgroup_id_x 1
		.amdhsa_system_sgpr_workgroup_id_y 0
		.amdhsa_system_sgpr_workgroup_id_z 0
		.amdhsa_system_sgpr_workgroup_info 0
		.amdhsa_system_vgpr_workitem_id 2
		.amdhsa_next_free_vgpr 12
		.amdhsa_next_free_sgpr 16
		.amdhsa_reserve_vcc 1
		.amdhsa_float_round_mode_32 0
		.amdhsa_float_round_mode_16_64 0
		.amdhsa_float_denorm_mode_32 3
		.amdhsa_float_denorm_mode_16_64 3
		.amdhsa_dx10_clamp 1
		.amdhsa_ieee_mode 1
		.amdhsa_fp16_overflow 0
		.amdhsa_workgroup_processor_mode 1
		.amdhsa_memory_ordered 1
		.amdhsa_forward_progress 0
		.amdhsa_shared_vgpr_count 0
		.amdhsa_exception_fp_ieee_invalid_op 0
		.amdhsa_exception_fp_denorm_src 0
		.amdhsa_exception_fp_ieee_div_zero 0
		.amdhsa_exception_fp_ieee_overflow 0
		.amdhsa_exception_fp_ieee_underflow 0
		.amdhsa_exception_fp_ieee_inexact 0
		.amdhsa_exception_int_div_zero 0
	.end_amdhsa_kernel
	.section	.text._Z11rank_kernelILj255ELj1ELj4ELb0EL18RadixRankAlgorithm2EhEvPKT4_Pijj,"axG",@progbits,_Z11rank_kernelILj255ELj1ELj4ELb0EL18RadixRankAlgorithm2EhEvPKT4_Pijj,comdat
.Lfunc_end65:
	.size	_Z11rank_kernelILj255ELj1ELj4ELb0EL18RadixRankAlgorithm2EhEvPKT4_Pijj, .Lfunc_end65-_Z11rank_kernelILj255ELj1ELj4ELb0EL18RadixRankAlgorithm2EhEvPKT4_Pijj
                                        ; -- End function
	.section	.AMDGPU.csdata,"",@progbits
; Kernel info:
; codeLenInByte = 1036
; NumSgprs: 18
; NumVgprs: 12
; ScratchSize: 0
; MemoryBound: 0
; FloatMode: 240
; IeeeMode: 1
; LDSByteSize: 1056 bytes/workgroup (compile time only)
; SGPRBlocks: 2
; VGPRBlocks: 1
; NumSGPRsForWavesPerEU: 18
; NumVGPRsForWavesPerEU: 12
; Occupancy: 16
; WaveLimiterHint : 0
; COMPUTE_PGM_RSRC2:SCRATCH_EN: 0
; COMPUTE_PGM_RSRC2:USER_SGPR: 15
; COMPUTE_PGM_RSRC2:TRAP_HANDLER: 0
; COMPUTE_PGM_RSRC2:TGID_X_EN: 1
; COMPUTE_PGM_RSRC2:TGID_Y_EN: 0
; COMPUTE_PGM_RSRC2:TGID_Z_EN: 0
; COMPUTE_PGM_RSRC2:TIDIG_COMP_CNT: 2
	.section	.text._Z11rank_kernelILj162ELj1ELj4ELb0EL18RadixRankAlgorithm2EjEvPKT4_Pijj,"axG",@progbits,_Z11rank_kernelILj162ELj1ELj4ELb0EL18RadixRankAlgorithm2EjEvPKT4_Pijj,comdat
	.protected	_Z11rank_kernelILj162ELj1ELj4ELb0EL18RadixRankAlgorithm2EjEvPKT4_Pijj ; -- Begin function _Z11rank_kernelILj162ELj1ELj4ELb0EL18RadixRankAlgorithm2EjEvPKT4_Pijj
	.globl	_Z11rank_kernelILj162ELj1ELj4ELb0EL18RadixRankAlgorithm2EjEvPKT4_Pijj
	.p2align	8
	.type	_Z11rank_kernelILj162ELj1ELj4ELb0EL18RadixRankAlgorithm2EjEvPKT4_Pijj,@function
_Z11rank_kernelILj162ELj1ELj4ELb0EL18RadixRankAlgorithm2EjEvPKT4_Pijj: ; @_Z11rank_kernelILj162ELj1ELj4ELb0EL18RadixRankAlgorithm2EjEvPKT4_Pijj
; %bb.0:
	s_clause 0x1
	s_load_b128 s[4:7], s[0:1], 0x0
	s_load_b64 s[8:9], s[0:1], 0x10
	v_and_b32_e32 v1, 0x3ff, v0
	s_mov_b32 s3, 0
	s_mul_i32 s2, s15, 0xa2
	v_mbcnt_lo_u32_b32 v4, -1, 0
	s_lshl_b64 s[2:3], s[2:3], 2
	v_lshlrev_b32_e32 v2, 2, v1
	v_and_b32_e32 v5, 0xe0, v1
	s_load_b32 s0, s[0:1], 0x24
	v_bfe_u32 v10, v0, 10, 10
	v_bfe_u32 v0, v0, 20, 10
	s_delay_alu instid0(VALU_DEP_3) | instskip(NEXT) | instid1(VALU_DEP_1)
	v_or_b32_e32 v3, v4, v5
	v_lshlrev_b32_e32 v3, 2, v3
	s_waitcnt lgkmcnt(0)
	s_add_u32 s4, s4, s2
	s_addc_u32 s5, s5, s3
	s_and_b32 s1, s9, 31
	global_load_b32 v6, v2, s[4:5]
	s_and_b32 s4, s8, 31
	s_delay_alu instid0(SALU_CYCLE_1) | instskip(NEXT) | instid1(SALU_CYCLE_1)
	s_add_i32 s4, s4, s1
	s_sub_i32 s4, 32, s4
	s_lshr_b32 s5, s0, 16
	s_delay_alu instid0(SALU_CYCLE_1)
	v_mad_u32_u24 v0, v0, s5, v10
	s_waitcnt vmcnt(0)
	ds_store_b32 v3, v6
	; wave barrier
	ds_load_b32 v6, v3
	s_waitcnt lgkmcnt(0)
	s_barrier
	buffer_gl0_inv
	v_lshlrev_b32_e32 v6, s4, v6
	s_sub_i32 s4, 32, s1
	s_delay_alu instid0(VALU_DEP_1) | instid1(SALU_CYCLE_1)
	v_lshrrev_b32_e32 v6, s4, v6
	s_and_b32 s4, s0, 0xffff
	s_cmp_lg_u32 s1, 0
	s_cselect_b32 vcc_lo, -1, 0
	s_delay_alu instid0(VALU_DEP_1) | instskip(NEXT) | instid1(VALU_DEP_1)
	v_cndmask_b32_e32 v8, 0, v6, vcc_lo
	v_and_b32_e32 v6, 1, v8
	v_lshlrev_b32_e32 v7, 30, v8
	v_lshlrev_b32_e32 v11, 29, v8
	s_delay_alu instid0(VALU_DEP_3) | instskip(NEXT) | instid1(VALU_DEP_1)
	v_add_co_u32 v6, s0, v6, -1
	v_cndmask_b32_e64 v9, 0, 1, s0
	s_delay_alu instid0(VALU_DEP_4) | instskip(SKIP_2) | instid1(VALU_DEP_4)
	v_not_b32_e32 v12, v7
	v_cmp_gt_i32_e64 s0, 0, v7
	v_not_b32_e32 v7, v11
	v_cmp_ne_u32_e32 vcc_lo, 0, v9
	v_lshlrev_b32_e32 v9, 28, v8
	v_ashrrev_i32_e32 v12, 31, v12
	s_delay_alu instid0(VALU_DEP_4)
	v_ashrrev_i32_e32 v7, 31, v7
	v_mul_lo_u32 v8, v8, 7
	v_xor_b32_e32 v6, vcc_lo, v6
	v_cmp_gt_i32_e32 vcc_lo, 0, v11
	v_not_b32_e32 v11, v9
	v_xor_b32_e32 v12, s0, v12
	v_cmp_gt_i32_e64 s0, 0, v9
	v_and_b32_e32 v6, exec_lo, v6
	v_xor_b32_e32 v10, vcc_lo, v7
	v_ashrrev_i32_e32 v9, 31, v11
	s_delay_alu instid0(VALU_DEP_3) | instskip(SKIP_1) | instid1(VALU_DEP_3)
	v_and_b32_e32 v11, v6, v12
	v_mad_u64_u32 v[6:7], null, v0, s4, v[1:2]
	v_xor_b32_e32 v0, s0, v9
	v_mov_b32_e32 v9, 0
	s_delay_alu instid0(VALU_DEP_4) | instskip(NEXT) | instid1(VALU_DEP_4)
	v_and_b32_e32 v7, v11, v10
	v_lshrrev_b32_e32 v6, 5, v6
	s_delay_alu instid0(VALU_DEP_2)
	v_and_b32_e32 v7, v7, v0
	ds_store_b32 v2, v9 offset:24
	s_waitcnt lgkmcnt(0)
	s_barrier
	v_add_lshl_u32 v6, v6, v8, 2
	v_mbcnt_lo_u32_b32 v0, v7, 0
	v_cmp_ne_u32_e64 s0, 0, v7
	buffer_gl0_inv
	; wave barrier
	v_cmp_eq_u32_e32 vcc_lo, 0, v0
	s_and_b32 s1, s0, vcc_lo
	s_delay_alu instid0(SALU_CYCLE_1)
	s_and_saveexec_b32 s0, s1
	s_cbranch_execz .LBB66_2
; %bb.1:
	v_bcnt_u32_b32 v7, v7, 0
	ds_store_b32 v6, v7 offset:24
.LBB66_2:
	s_or_b32 exec_lo, exec_lo, s0
	; wave barrier
	s_waitcnt lgkmcnt(0)
	s_barrier
	buffer_gl0_inv
	ds_load_b32 v7, v2 offset:24
	v_min_u32_e32 v5, 0x82, v5
	s_mov_b32 s0, exec_lo
	s_delay_alu instid0(VALU_DEP_1) | instskip(SKIP_3) | instid1(VALU_DEP_1)
	v_add_nc_u32_e32 v10, 31, v5
	s_waitcnt lgkmcnt(0)
	v_mov_b32_dpp v9, v7 row_shr:1 row_mask:0xf bank_mask:0xf
	v_and_b32_e32 v8, 15, v4
	v_cmp_ne_u32_e32 vcc_lo, 0, v8
	s_delay_alu instid0(VALU_DEP_3) | instskip(SKIP_1) | instid1(VALU_DEP_2)
	v_cndmask_b32_e32 v9, 0, v9, vcc_lo
	v_cmp_lt_u32_e32 vcc_lo, 1, v8
	v_add_nc_u32_e32 v7, v9, v7
	s_delay_alu instid0(VALU_DEP_1) | instskip(NEXT) | instid1(VALU_DEP_1)
	v_mov_b32_dpp v9, v7 row_shr:2 row_mask:0xf bank_mask:0xf
	v_cndmask_b32_e32 v9, 0, v9, vcc_lo
	v_cmp_lt_u32_e32 vcc_lo, 3, v8
	s_delay_alu instid0(VALU_DEP_2) | instskip(NEXT) | instid1(VALU_DEP_1)
	v_add_nc_u32_e32 v7, v7, v9
	v_mov_b32_dpp v9, v7 row_shr:4 row_mask:0xf bank_mask:0xf
	s_delay_alu instid0(VALU_DEP_1) | instskip(SKIP_1) | instid1(VALU_DEP_2)
	v_cndmask_b32_e32 v9, 0, v9, vcc_lo
	v_cmp_lt_u32_e32 vcc_lo, 7, v8
	v_add_nc_u32_e32 v7, v7, v9
	s_delay_alu instid0(VALU_DEP_1) | instskip(NEXT) | instid1(VALU_DEP_1)
	v_mov_b32_dpp v9, v7 row_shr:8 row_mask:0xf bank_mask:0xf
	v_cndmask_b32_e32 v8, 0, v9, vcc_lo
	v_bfe_i32 v9, v4, 4, 1
	s_delay_alu instid0(VALU_DEP_2) | instskip(SKIP_4) | instid1(VALU_DEP_2)
	v_add_nc_u32_e32 v8, v7, v8
	ds_swizzle_b32 v7, v8 offset:swizzle(BROADCAST,32,15)
	s_waitcnt lgkmcnt(0)
	v_and_b32_e32 v9, v9, v7
	v_lshrrev_b32_e32 v7, 5, v1
	v_add_nc_u32_e32 v5, v8, v9
	v_cmpx_eq_u32_e64 v10, v1
	s_cbranch_execz .LBB66_4
; %bb.3:
	s_delay_alu instid0(VALU_DEP_3)
	v_lshlrev_b32_e32 v8, 2, v7
	ds_store_b32 v8, v5
.LBB66_4:
	s_or_b32 exec_lo, exec_lo, s0
	s_delay_alu instid0(SALU_CYCLE_1)
	s_mov_b32 s0, exec_lo
	s_waitcnt lgkmcnt(0)
	s_barrier
	buffer_gl0_inv
	v_cmpx_gt_u32_e32 6, v1
	s_cbranch_execz .LBB66_6
; %bb.5:
	ds_load_b32 v8, v2
	s_waitcnt lgkmcnt(0)
	v_mov_b32_dpp v10, v8 row_shr:1 row_mask:0xf bank_mask:0xf
	v_and_b32_e32 v9, 7, v4
	s_delay_alu instid0(VALU_DEP_1) | instskip(NEXT) | instid1(VALU_DEP_3)
	v_cmp_ne_u32_e32 vcc_lo, 0, v9
	v_cndmask_b32_e32 v10, 0, v10, vcc_lo
	v_cmp_lt_u32_e32 vcc_lo, 1, v9
	s_delay_alu instid0(VALU_DEP_2) | instskip(NEXT) | instid1(VALU_DEP_1)
	v_add_nc_u32_e32 v8, v10, v8
	v_mov_b32_dpp v10, v8 row_shr:2 row_mask:0xf bank_mask:0xf
	s_delay_alu instid0(VALU_DEP_1) | instskip(SKIP_1) | instid1(VALU_DEP_2)
	v_cndmask_b32_e32 v10, 0, v10, vcc_lo
	v_cmp_lt_u32_e32 vcc_lo, 3, v9
	v_add_nc_u32_e32 v8, v8, v10
	s_delay_alu instid0(VALU_DEP_1) | instskip(NEXT) | instid1(VALU_DEP_1)
	v_mov_b32_dpp v10, v8 row_shr:4 row_mask:0xf bank_mask:0xf
	v_cndmask_b32_e32 v9, 0, v10, vcc_lo
	s_delay_alu instid0(VALU_DEP_1)
	v_add_nc_u32_e32 v8, v8, v9
	ds_store_b32 v2, v8
.LBB66_6:
	s_or_b32 exec_lo, exec_lo, s0
	v_cmp_lt_u32_e32 vcc_lo, 31, v1
	v_mov_b32_e32 v1, 0
	s_waitcnt lgkmcnt(0)
	s_barrier
	buffer_gl0_inv
	s_and_saveexec_b32 s0, vcc_lo
	s_cbranch_execz .LBB66_8
; %bb.7:
	v_lshl_add_u32 v1, v7, 2, -4
	ds_load_b32 v1, v1
.LBB66_8:
	s_or_b32 exec_lo, exec_lo, s0
	v_add_nc_u32_e32 v7, -1, v4
	s_waitcnt lgkmcnt(0)
	v_add_nc_u32_e32 v5, v1, v5
	s_add_u32 s0, s6, s2
	s_addc_u32 s1, s7, s3
	v_cmp_gt_i32_e32 vcc_lo, 0, v7
	v_cndmask_b32_e32 v7, v7, v4, vcc_lo
	v_cmp_eq_u32_e32 vcc_lo, 0, v4
	s_delay_alu instid0(VALU_DEP_2)
	v_lshlrev_b32_e32 v7, 2, v7
	ds_bpermute_b32 v5, v7, v5
	s_waitcnt lgkmcnt(0)
	v_cndmask_b32_e32 v1, v5, v1, vcc_lo
	ds_store_b32 v2, v1 offset:24
	s_waitcnt lgkmcnt(0)
	s_barrier
	buffer_gl0_inv
	ds_load_b32 v1, v6 offset:24
	s_waitcnt lgkmcnt(0)
	s_barrier
	buffer_gl0_inv
	v_add_nc_u32_e32 v0, v1, v0
	ds_store_b32 v3, v0
	; wave barrier
	ds_load_b32 v0, v3
	s_waitcnt lgkmcnt(0)
	global_store_b32 v2, v0, s[0:1]
	s_nop 0
	s_sendmsg sendmsg(MSG_DEALLOC_VGPRS)
	s_endpgm
	.section	.rodata,"a",@progbits
	.p2align	6, 0x0
	.amdhsa_kernel _Z11rank_kernelILj162ELj1ELj4ELb0EL18RadixRankAlgorithm2EjEvPKT4_Pijj
		.amdhsa_group_segment_fixed_size 672
		.amdhsa_private_segment_fixed_size 0
		.amdhsa_kernarg_size 280
		.amdhsa_user_sgpr_count 15
		.amdhsa_user_sgpr_dispatch_ptr 0
		.amdhsa_user_sgpr_queue_ptr 0
		.amdhsa_user_sgpr_kernarg_segment_ptr 1
		.amdhsa_user_sgpr_dispatch_id 0
		.amdhsa_user_sgpr_private_segment_size 0
		.amdhsa_wavefront_size32 1
		.amdhsa_uses_dynamic_stack 0
		.amdhsa_enable_private_segment 0
		.amdhsa_system_sgpr_workgroup_id_x 1
		.amdhsa_system_sgpr_workgroup_id_y 0
		.amdhsa_system_sgpr_workgroup_id_z 0
		.amdhsa_system_sgpr_workgroup_info 0
		.amdhsa_system_vgpr_workitem_id 2
		.amdhsa_next_free_vgpr 13
		.amdhsa_next_free_sgpr 16
		.amdhsa_reserve_vcc 1
		.amdhsa_float_round_mode_32 0
		.amdhsa_float_round_mode_16_64 0
		.amdhsa_float_denorm_mode_32 3
		.amdhsa_float_denorm_mode_16_64 3
		.amdhsa_dx10_clamp 1
		.amdhsa_ieee_mode 1
		.amdhsa_fp16_overflow 0
		.amdhsa_workgroup_processor_mode 1
		.amdhsa_memory_ordered 1
		.amdhsa_forward_progress 0
		.amdhsa_shared_vgpr_count 0
		.amdhsa_exception_fp_ieee_invalid_op 0
		.amdhsa_exception_fp_denorm_src 0
		.amdhsa_exception_fp_ieee_div_zero 0
		.amdhsa_exception_fp_ieee_overflow 0
		.amdhsa_exception_fp_ieee_underflow 0
		.amdhsa_exception_fp_ieee_inexact 0
		.amdhsa_exception_int_div_zero 0
	.end_amdhsa_kernel
	.section	.text._Z11rank_kernelILj162ELj1ELj4ELb0EL18RadixRankAlgorithm2EjEvPKT4_Pijj,"axG",@progbits,_Z11rank_kernelILj162ELj1ELj4ELb0EL18RadixRankAlgorithm2EjEvPKT4_Pijj,comdat
.Lfunc_end66:
	.size	_Z11rank_kernelILj162ELj1ELj4ELb0EL18RadixRankAlgorithm2EjEvPKT4_Pijj, .Lfunc_end66-_Z11rank_kernelILj162ELj1ELj4ELb0EL18RadixRankAlgorithm2EjEvPKT4_Pijj
                                        ; -- End function
	.section	.AMDGPU.csdata,"",@progbits
; Kernel info:
; codeLenInByte = 1040
; NumSgprs: 18
; NumVgprs: 13
; ScratchSize: 0
; MemoryBound: 0
; FloatMode: 240
; IeeeMode: 1
; LDSByteSize: 672 bytes/workgroup (compile time only)
; SGPRBlocks: 2
; VGPRBlocks: 1
; NumSGPRsForWavesPerEU: 18
; NumVGPRsForWavesPerEU: 13
; Occupancy: 15
; WaveLimiterHint : 0
; COMPUTE_PGM_RSRC2:SCRATCH_EN: 0
; COMPUTE_PGM_RSRC2:USER_SGPR: 15
; COMPUTE_PGM_RSRC2:TRAP_HANDLER: 0
; COMPUTE_PGM_RSRC2:TGID_X_EN: 1
; COMPUTE_PGM_RSRC2:TGID_Y_EN: 0
; COMPUTE_PGM_RSRC2:TGID_Z_EN: 0
; COMPUTE_PGM_RSRC2:TIDIG_COMP_CNT: 2
	.section	.text._Z11rank_kernelILj510ELj1ELj4ELb1EL18RadixRankAlgorithm2ExEvPKT4_Pijj,"axG",@progbits,_Z11rank_kernelILj510ELj1ELj4ELb1EL18RadixRankAlgorithm2ExEvPKT4_Pijj,comdat
	.protected	_Z11rank_kernelILj510ELj1ELj4ELb1EL18RadixRankAlgorithm2ExEvPKT4_Pijj ; -- Begin function _Z11rank_kernelILj510ELj1ELj4ELb1EL18RadixRankAlgorithm2ExEvPKT4_Pijj
	.globl	_Z11rank_kernelILj510ELj1ELj4ELb1EL18RadixRankAlgorithm2ExEvPKT4_Pijj
	.p2align	8
	.type	_Z11rank_kernelILj510ELj1ELj4ELb1EL18RadixRankAlgorithm2ExEvPKT4_Pijj,@function
_Z11rank_kernelILj510ELj1ELj4ELb1EL18RadixRankAlgorithm2ExEvPKT4_Pijj: ; @_Z11rank_kernelILj510ELj1ELj4ELb1EL18RadixRankAlgorithm2ExEvPKT4_Pijj
; %bb.0:
	s_clause 0x1
	s_load_b128 s[4:7], s[0:1], 0x0
	s_load_b64 s[2:3], s[0:1], 0x10
	v_and_b32_e32 v1, 0x3ff, v0
	s_mov_b32 s9, 0
	s_mul_i32 s8, s15, 0x1fe
	v_mov_b32_e32 v9, 0
	s_lshl_b64 s[10:11], s[8:9], 3
	v_lshlrev_b32_e32 v2, 3, v1
	v_mbcnt_lo_u32_b32 v6, -1, 0
	v_and_b32_e32 v7, 0x1e0, v1
	s_load_b32 s1, s[0:1], 0x24
	v_bfe_u32 v8, v0, 20, 10
	v_bfe_u32 v0, v0, 10, 10
	s_delay_alu instid0(VALU_DEP_3) | instskip(NEXT) | instid1(VALU_DEP_1)
	v_or_b32_e32 v4, v6, v7
	v_lshlrev_b32_e32 v5, 3, v4
	s_waitcnt lgkmcnt(0)
	s_add_u32 s4, s4, s10
	s_addc_u32 s5, s5, s11
	global_load_b64 v[2:3], v2, s[4:5]
	s_lshr_b32 s0, s1, 16
	s_delay_alu instid0(SALU_CYCLE_1) | instskip(SKIP_1) | instid1(SALU_CYCLE_1)
	v_mul_u32_u24_e32 v8, s0, v8
	s_and_b32 s0, s3, 63
	s_cmp_eq_u32 s0, 0
	s_waitcnt vmcnt(0)
	ds_store_b64 v5, v[2:3]
	; wave barrier
	ds_load_b64 v[2:3], v5
	v_lshlrev_b32_e32 v5, 2, v1
	s_waitcnt lgkmcnt(0)
	s_barrier
	buffer_gl0_inv
	ds_store_b32 v5, v9 offset:64
	s_waitcnt lgkmcnt(0)
	s_barrier
	buffer_gl0_inv
	s_cbranch_scc1 .LBB67_2
; %bb.1:
	s_and_b32 s2, s2, 63
	v_xor_b32_e32 v3, 0x80000000, v3
	s_add_i32 s2, s2, s0
	s_sub_i32 s0, 64, s0
	s_sub_i32 s2, 64, s2
	s_delay_alu instid0(VALU_DEP_1) | instid1(SALU_CYCLE_1)
	v_lshlrev_b64 v[2:3], s2, v[2:3]
	s_delay_alu instid0(VALU_DEP_1) | instskip(NEXT) | instid1(VALU_DEP_1)
	v_lshrrev_b64 v[2:3], s0, v[2:3]
	v_xor_b32_e32 v2, 15, v2
	s_branch .LBB67_3
.LBB67_2:
	v_mov_b32_e32 v2, 15
.LBB67_3:
	s_delay_alu instid0(VALU_DEP_1) | instskip(SKIP_3) | instid1(VALU_DEP_4)
	v_and_b32_e32 v3, 1, v2
	v_lshlrev_b32_e32 v9, 30, v2
	v_lshlrev_b32_e32 v11, 29, v2
	v_add_nc_u32_e32 v0, v8, v0
	v_add_co_u32 v3, s0, v3, -1
	s_delay_alu instid0(VALU_DEP_1) | instskip(SKIP_3) | instid1(VALU_DEP_4)
	v_cndmask_b32_e64 v10, 0, 1, s0
	v_not_b32_e32 v12, v9
	v_cmp_gt_i32_e64 s0, 0, v9
	v_not_b32_e32 v9, v11
	; wave barrier
	v_cmp_ne_u32_e32 vcc_lo, 0, v10
	v_lshlrev_b32_e32 v10, 28, v2
	v_ashrrev_i32_e32 v12, 31, v12
	s_delay_alu instid0(VALU_DEP_4)
	v_ashrrev_i32_e32 v9, 31, v9
	v_xor_b32_e32 v3, vcc_lo, v3
	v_cmp_gt_i32_e32 vcc_lo, 0, v11
	v_not_b32_e32 v11, v10
	v_xor_b32_e32 v12, s0, v12
	v_cmp_gt_i32_e64 s0, 0, v10
	v_and_b32_e32 v3, exec_lo, v3
	v_xor_b32_e32 v9, vcc_lo, v9
	v_ashrrev_i32_e32 v10, 31, v11
	s_delay_alu instid0(VALU_DEP_3) | instskip(NEXT) | instid1(VALU_DEP_2)
	v_and_b32_e32 v3, v3, v12
	v_xor_b32_e32 v10, s0, v10
	s_and_b32 s0, s1, 0xffff
	s_delay_alu instid0(VALU_DEP_2) | instskip(SKIP_2) | instid1(VALU_DEP_3)
	v_and_b32_e32 v3, v3, v9
	v_mad_u64_u32 v[8:9], null, v0, s0, v[1:2]
	v_lshl_add_u32 v2, v2, 4, v2
	v_and_b32_e32 v3, v3, v10
	s_delay_alu instid0(VALU_DEP_3) | instskip(NEXT) | instid1(VALU_DEP_2)
	v_lshrrev_b32_e32 v8, 5, v8
	v_mbcnt_lo_u32_b32 v0, v3, 0
	v_cmp_ne_u32_e64 s0, 0, v3
	s_delay_alu instid0(VALU_DEP_3) | instskip(NEXT) | instid1(VALU_DEP_3)
	v_add_lshl_u32 v2, v2, v8, 2
	v_cmp_eq_u32_e32 vcc_lo, 0, v0
	s_delay_alu instid0(VALU_DEP_3) | instskip(NEXT) | instid1(SALU_CYCLE_1)
	s_and_b32 s1, s0, vcc_lo
	s_and_saveexec_b32 s0, s1
	s_cbranch_execz .LBB67_5
; %bb.4:
	v_bcnt_u32_b32 v3, v3, 0
	ds_store_b32 v2, v3 offset:64
.LBB67_5:
	s_or_b32 exec_lo, exec_lo, s0
	; wave barrier
	s_waitcnt lgkmcnt(0)
	s_barrier
	buffer_gl0_inv
	ds_load_b32 v3, v5 offset:64
	v_and_b32_e32 v8, 15, v6
	v_min_u32_e32 v7, 0x1de, v7
	s_mov_b32 s4, exec_lo
	s_delay_alu instid0(VALU_DEP_2)
	v_cmp_eq_u32_e32 vcc_lo, 0, v8
	v_cmp_lt_u32_e64 s0, 1, v8
	v_cmp_lt_u32_e64 s1, 3, v8
	;; [unrolled: 1-line block ×3, first 2 shown]
	s_waitcnt lgkmcnt(0)
	v_mov_b32_dpp v9, v3 row_shr:1 row_mask:0xf bank_mask:0xf
	s_delay_alu instid0(VALU_DEP_1) | instskip(NEXT) | instid1(VALU_DEP_1)
	v_cndmask_b32_e64 v9, v9, 0, vcc_lo
	v_add_nc_u32_e32 v3, v9, v3
	s_delay_alu instid0(VALU_DEP_1) | instskip(NEXT) | instid1(VALU_DEP_1)
	v_mov_b32_dpp v9, v3 row_shr:2 row_mask:0xf bank_mask:0xf
	v_cndmask_b32_e64 v9, 0, v9, s0
	s_delay_alu instid0(VALU_DEP_1) | instskip(NEXT) | instid1(VALU_DEP_1)
	v_add_nc_u32_e32 v3, v3, v9
	v_mov_b32_dpp v9, v3 row_shr:4 row_mask:0xf bank_mask:0xf
	s_delay_alu instid0(VALU_DEP_1) | instskip(NEXT) | instid1(VALU_DEP_1)
	v_cndmask_b32_e64 v9, 0, v9, s1
	v_add_nc_u32_e32 v3, v3, v9
	s_delay_alu instid0(VALU_DEP_1) | instskip(NEXT) | instid1(VALU_DEP_1)
	v_mov_b32_dpp v9, v3 row_shr:8 row_mask:0xf bank_mask:0xf
	v_cndmask_b32_e64 v8, 0, v9, s2
	v_bfe_i32 v9, v6, 4, 1
	s_delay_alu instid0(VALU_DEP_2)
	v_add_nc_u32_e32 v3, v3, v8
	ds_swizzle_b32 v8, v3 offset:swizzle(BROADCAST,32,15)
	s_waitcnt lgkmcnt(0)
	v_and_b32_e32 v8, v9, v8
	v_add_nc_u32_e32 v9, 31, v7
	v_lshrrev_b32_e32 v7, 5, v1
	s_delay_alu instid0(VALU_DEP_3) | instskip(NEXT) | instid1(VALU_DEP_3)
	v_add_nc_u32_e32 v3, v3, v8
	v_cmpx_eq_u32_e64 v9, v1
	s_cbranch_execz .LBB67_7
; %bb.6:
	s_delay_alu instid0(VALU_DEP_3)
	v_lshlrev_b32_e32 v8, 2, v7
	ds_store_b32 v8, v3
.LBB67_7:
	s_or_b32 exec_lo, exec_lo, s4
	s_delay_alu instid0(SALU_CYCLE_1)
	s_mov_b32 s4, exec_lo
	s_waitcnt lgkmcnt(0)
	s_barrier
	buffer_gl0_inv
	v_cmpx_gt_u32_e32 16, v1
	s_cbranch_execz .LBB67_9
; %bb.8:
	ds_load_b32 v8, v5
	s_waitcnt lgkmcnt(0)
	v_mov_b32_dpp v9, v8 row_shr:1 row_mask:0xf bank_mask:0xf
	s_delay_alu instid0(VALU_DEP_1) | instskip(NEXT) | instid1(VALU_DEP_1)
	v_cndmask_b32_e64 v9, v9, 0, vcc_lo
	v_add_nc_u32_e32 v8, v9, v8
	s_delay_alu instid0(VALU_DEP_1) | instskip(NEXT) | instid1(VALU_DEP_1)
	v_mov_b32_dpp v9, v8 row_shr:2 row_mask:0xf bank_mask:0xf
	v_cndmask_b32_e64 v9, 0, v9, s0
	s_delay_alu instid0(VALU_DEP_1) | instskip(NEXT) | instid1(VALU_DEP_1)
	v_add_nc_u32_e32 v8, v8, v9
	v_mov_b32_dpp v9, v8 row_shr:4 row_mask:0xf bank_mask:0xf
	s_delay_alu instid0(VALU_DEP_1) | instskip(NEXT) | instid1(VALU_DEP_1)
	v_cndmask_b32_e64 v9, 0, v9, s1
	v_add_nc_u32_e32 v8, v8, v9
	s_delay_alu instid0(VALU_DEP_1) | instskip(NEXT) | instid1(VALU_DEP_1)
	v_mov_b32_dpp v9, v8 row_shr:8 row_mask:0xf bank_mask:0xf
	v_cndmask_b32_e64 v9, 0, v9, s2
	s_delay_alu instid0(VALU_DEP_1)
	v_add_nc_u32_e32 v8, v8, v9
	ds_store_b32 v5, v8
.LBB67_9:
	s_or_b32 exec_lo, exec_lo, s4
	v_cmp_lt_u32_e32 vcc_lo, 31, v1
	v_mov_b32_e32 v1, 0
	s_waitcnt lgkmcnt(0)
	s_barrier
	buffer_gl0_inv
	s_and_saveexec_b32 s0, vcc_lo
	s_cbranch_execz .LBB67_11
; %bb.10:
	v_lshl_add_u32 v1, v7, 2, -4
	ds_load_b32 v1, v1
.LBB67_11:
	s_or_b32 exec_lo, exec_lo, s0
	v_add_nc_u32_e32 v7, -1, v6
	s_waitcnt lgkmcnt(0)
	v_add_nc_u32_e32 v3, v1, v3
	s_lshl_b64 s[0:1], s[8:9], 2
	s_delay_alu instid0(SALU_CYCLE_1) | instskip(SKIP_4) | instid1(VALU_DEP_2)
	s_add_u32 s0, s6, s0
	v_cmp_gt_i32_e32 vcc_lo, 0, v7
	s_addc_u32 s1, s7, s1
	v_cndmask_b32_e32 v7, v7, v6, vcc_lo
	v_cmp_eq_u32_e32 vcc_lo, 0, v6
	v_lshlrev_b32_e32 v7, 2, v7
	ds_bpermute_b32 v3, v7, v3
	s_waitcnt lgkmcnt(0)
	v_cndmask_b32_e32 v1, v3, v1, vcc_lo
	ds_store_b32 v5, v1 offset:64
	s_waitcnt lgkmcnt(0)
	s_barrier
	buffer_gl0_inv
	ds_load_b32 v1, v2 offset:64
	v_lshlrev_b32_e32 v2, 2, v4
	s_waitcnt lgkmcnt(0)
	s_barrier
	buffer_gl0_inv
	v_add_nc_u32_e32 v0, v1, v0
	ds_store_b32 v2, v0
	; wave barrier
	ds_load_b32 v0, v2
	s_waitcnt lgkmcnt(0)
	global_store_b32 v5, v0, s[0:1]
	s_nop 0
	s_sendmsg sendmsg(MSG_DEALLOC_VGPRS)
	s_endpgm
	.section	.rodata,"a",@progbits
	.p2align	6, 0x0
	.amdhsa_kernel _Z11rank_kernelILj510ELj1ELj4ELb1EL18RadixRankAlgorithm2ExEvPKT4_Pijj
		.amdhsa_group_segment_fixed_size 4080
		.amdhsa_private_segment_fixed_size 0
		.amdhsa_kernarg_size 280
		.amdhsa_user_sgpr_count 15
		.amdhsa_user_sgpr_dispatch_ptr 0
		.amdhsa_user_sgpr_queue_ptr 0
		.amdhsa_user_sgpr_kernarg_segment_ptr 1
		.amdhsa_user_sgpr_dispatch_id 0
		.amdhsa_user_sgpr_private_segment_size 0
		.amdhsa_wavefront_size32 1
		.amdhsa_uses_dynamic_stack 0
		.amdhsa_enable_private_segment 0
		.amdhsa_system_sgpr_workgroup_id_x 1
		.amdhsa_system_sgpr_workgroup_id_y 0
		.amdhsa_system_sgpr_workgroup_id_z 0
		.amdhsa_system_sgpr_workgroup_info 0
		.amdhsa_system_vgpr_workitem_id 2
		.amdhsa_next_free_vgpr 13
		.amdhsa_next_free_sgpr 16
		.amdhsa_reserve_vcc 1
		.amdhsa_float_round_mode_32 0
		.amdhsa_float_round_mode_16_64 0
		.amdhsa_float_denorm_mode_32 3
		.amdhsa_float_denorm_mode_16_64 3
		.amdhsa_dx10_clamp 1
		.amdhsa_ieee_mode 1
		.amdhsa_fp16_overflow 0
		.amdhsa_workgroup_processor_mode 1
		.amdhsa_memory_ordered 1
		.amdhsa_forward_progress 0
		.amdhsa_shared_vgpr_count 0
		.amdhsa_exception_fp_ieee_invalid_op 0
		.amdhsa_exception_fp_denorm_src 0
		.amdhsa_exception_fp_ieee_div_zero 0
		.amdhsa_exception_fp_ieee_overflow 0
		.amdhsa_exception_fp_ieee_underflow 0
		.amdhsa_exception_fp_ieee_inexact 0
		.amdhsa_exception_int_div_zero 0
	.end_amdhsa_kernel
	.section	.text._Z11rank_kernelILj510ELj1ELj4ELb1EL18RadixRankAlgorithm2ExEvPKT4_Pijj,"axG",@progbits,_Z11rank_kernelILj510ELj1ELj4ELb1EL18RadixRankAlgorithm2ExEvPKT4_Pijj,comdat
.Lfunc_end67:
	.size	_Z11rank_kernelILj510ELj1ELj4ELb1EL18RadixRankAlgorithm2ExEvPKT4_Pijj, .Lfunc_end67-_Z11rank_kernelILj510ELj1ELj4ELb1EL18RadixRankAlgorithm2ExEvPKT4_Pijj
                                        ; -- End function
	.section	.AMDGPU.csdata,"",@progbits
; Kernel info:
; codeLenInByte = 1128
; NumSgprs: 18
; NumVgprs: 13
; ScratchSize: 0
; MemoryBound: 0
; FloatMode: 240
; IeeeMode: 1
; LDSByteSize: 4080 bytes/workgroup (compile time only)
; SGPRBlocks: 2
; VGPRBlocks: 1
; NumSGPRsForWavesPerEU: 18
; NumVGPRsForWavesPerEU: 13
; Occupancy: 16
; WaveLimiterHint : 0
; COMPUTE_PGM_RSRC2:SCRATCH_EN: 0
; COMPUTE_PGM_RSRC2:USER_SGPR: 15
; COMPUTE_PGM_RSRC2:TRAP_HANDLER: 0
; COMPUTE_PGM_RSRC2:TGID_X_EN: 1
; COMPUTE_PGM_RSRC2:TGID_Y_EN: 0
; COMPUTE_PGM_RSRC2:TGID_Z_EN: 0
; COMPUTE_PGM_RSRC2:TIDIG_COMP_CNT: 2
	.section	.text._Z11rank_kernelILj37ELj1ELj4ELb0EL18RadixRankAlgorithm2EfEvPKT4_Pijj,"axG",@progbits,_Z11rank_kernelILj37ELj1ELj4ELb0EL18RadixRankAlgorithm2EfEvPKT4_Pijj,comdat
	.protected	_Z11rank_kernelILj37ELj1ELj4ELb0EL18RadixRankAlgorithm2EfEvPKT4_Pijj ; -- Begin function _Z11rank_kernelILj37ELj1ELj4ELb0EL18RadixRankAlgorithm2EfEvPKT4_Pijj
	.globl	_Z11rank_kernelILj37ELj1ELj4ELb0EL18RadixRankAlgorithm2EfEvPKT4_Pijj
	.p2align	8
	.type	_Z11rank_kernelILj37ELj1ELj4ELb0EL18RadixRankAlgorithm2EfEvPKT4_Pijj,@function
_Z11rank_kernelILj37ELj1ELj4ELb0EL18RadixRankAlgorithm2EfEvPKT4_Pijj: ; @_Z11rank_kernelILj37ELj1ELj4ELb0EL18RadixRankAlgorithm2EfEvPKT4_Pijj
; %bb.0:
	s_clause 0x1
	s_load_b128 s[4:7], s[0:1], 0x0
	s_load_b64 s[8:9], s[0:1], 0x10
	v_and_b32_e32 v1, 0x3ff, v0
	s_mov_b32 s3, 0
	s_mul_i32 s2, s15, 37
	v_mbcnt_lo_u32_b32 v6, -1, 0
	s_lshl_b64 s[2:3], s[2:3], 2
	v_lshlrev_b32_e32 v4, 2, v1
	v_and_b32_e32 v7, 32, v1
	s_load_b32 s0, s[0:1], 0x24
	v_bfe_u32 v10, v0, 10, 10
	v_bfe_u32 v0, v0, 20, 10
	s_delay_alu instid0(VALU_DEP_3) | instskip(NEXT) | instid1(VALU_DEP_1)
	v_or_b32_e32 v3, v6, v7
	v_lshlrev_b32_e32 v5, 2, v3
	s_waitcnt lgkmcnt(0)
	s_add_u32 s4, s4, s2
	s_addc_u32 s5, s5, s3
	s_and_b32 s1, s9, 31
	global_load_b32 v2, v4, s[4:5]
	s_and_b32 s4, s8, 31
	s_delay_alu instid0(SALU_CYCLE_1) | instskip(NEXT) | instid1(SALU_CYCLE_1)
	s_add_i32 s4, s4, s1
	s_sub_i32 s4, 32, s4
	s_lshr_b32 s5, s0, 16
	s_delay_alu instid0(SALU_CYCLE_1)
	v_mad_u32_u24 v0, v0, s5, v10
	s_waitcnt vmcnt(0)
	ds_store_b32 v5, v2
	; wave barrier
	ds_load_b32 v2, v5
	s_waitcnt lgkmcnt(0)
	s_barrier
	buffer_gl0_inv
	v_cmp_lt_i32_e32 vcc_lo, -1, v2
	v_cndmask_b32_e64 v3, -1, 0x80000000, vcc_lo
	s_delay_alu instid0(VALU_DEP_1) | instskip(NEXT) | instid1(VALU_DEP_1)
	v_xor_b32_e32 v2, v3, v2
	v_cmp_ne_u32_e32 vcc_lo, 0x7fffffff, v2
	v_cndmask_b32_e32 v2, 0x80000000, v2, vcc_lo
	s_delay_alu instid0(VALU_DEP_1)
	v_lshlrev_b32_e32 v2, s4, v2
	s_sub_i32 s4, 32, s1
	s_delay_alu instid0(VALU_DEP_1) | instid1(SALU_CYCLE_1)
	v_lshrrev_b32_e32 v2, s4, v2
	s_and_b32 s4, s0, 0xffff
	s_cmp_lg_u32 s1, 0
	s_cselect_b32 vcc_lo, -1, 0
	s_delay_alu instid0(VALU_DEP_1) | instskip(NEXT) | instid1(VALU_DEP_1)
	v_cndmask_b32_e32 v3, 0, v2, vcc_lo
	v_and_b32_e32 v2, 1, v3
	v_lshlrev_b32_e32 v8, 30, v3
	v_lshlrev_b32_e32 v11, 29, v3
	s_delay_alu instid0(VALU_DEP_3) | instskip(NEXT) | instid1(VALU_DEP_1)
	v_add_co_u32 v2, s0, v2, -1
	v_cndmask_b32_e64 v9, 0, 1, s0
	s_delay_alu instid0(VALU_DEP_4) | instskip(SKIP_2) | instid1(VALU_DEP_4)
	v_not_b32_e32 v12, v8
	v_cmp_gt_i32_e64 s0, 0, v8
	v_not_b32_e32 v8, v11
	v_cmp_ne_u32_e32 vcc_lo, 0, v9
	v_lshlrev_b32_e32 v9, 28, v3
	v_ashrrev_i32_e32 v12, 31, v12
	s_delay_alu instid0(VALU_DEP_4)
	v_ashrrev_i32_e32 v8, 31, v8
	v_lshl_add_u32 v3, v3, 1, v3
	v_xor_b32_e32 v2, vcc_lo, v2
	v_cmp_gt_i32_e32 vcc_lo, 0, v11
	v_not_b32_e32 v11, v9
	v_xor_b32_e32 v12, s0, v12
	v_cmp_gt_i32_e64 s0, 0, v9
	v_and_b32_e32 v2, exec_lo, v2
	s_delay_alu instid0(VALU_DEP_4) | instskip(SKIP_1) | instid1(VALU_DEP_3)
	v_ashrrev_i32_e32 v10, 31, v11
	v_xor_b32_e32 v11, vcc_lo, v8
	v_and_b32_e32 v2, v2, v12
	s_delay_alu instid0(VALU_DEP_1) | instskip(SKIP_3) | instid1(VALU_DEP_4)
	v_mad_u64_u32 v[8:9], null, v0, s4, v[1:2]
	v_mov_b32_e32 v9, 0
	v_xor_b32_e32 v0, s0, v10
	v_and_b32_e32 v2, v2, v11
	v_lshrrev_b32_e32 v10, 5, v8
	s_delay_alu instid0(VALU_DEP_2) | instskip(SKIP_1) | instid1(VALU_DEP_2)
	v_and_b32_e32 v2, v2, v0
	v_lshlrev_b32_e32 v0, 3, v1
	v_mbcnt_lo_u32_b32 v8, v2, 0
	v_cmp_ne_u32_e64 s0, 0, v2
	ds_store_2addr_b32 v0, v9, v9 offset0:2 offset1:3
	v_add_lshl_u32 v9, v10, v3, 2
	s_waitcnt lgkmcnt(0)
	v_cmp_eq_u32_e32 vcc_lo, 0, v8
	s_barrier
	buffer_gl0_inv
	; wave barrier
	s_and_b32 s1, s0, vcc_lo
	s_delay_alu instid0(SALU_CYCLE_1)
	s_and_saveexec_b32 s0, s1
	s_cbranch_execz .LBB68_2
; %bb.1:
	v_bcnt_u32_b32 v2, v2, 0
	ds_store_b32 v9, v2 offset:8
.LBB68_2:
	s_or_b32 exec_lo, exec_lo, s0
	; wave barrier
	s_waitcnt lgkmcnt(0)
	s_barrier
	buffer_gl0_inv
	ds_load_2addr_b32 v[2:3], v0 offset0:2 offset1:3
	v_min_u32_e32 v7, 5, v7
	s_mov_b32 s0, exec_lo
	s_waitcnt lgkmcnt(0)
	v_add_nc_u32_e32 v3, v3, v2
	s_delay_alu instid0(VALU_DEP_1) | instskip(SKIP_1) | instid1(VALU_DEP_1)
	v_mov_b32_dpp v11, v3 row_shr:1 row_mask:0xf bank_mask:0xf
	v_and_b32_e32 v10, 15, v6
	v_cmp_ne_u32_e32 vcc_lo, 0, v10
	s_delay_alu instid0(VALU_DEP_3) | instskip(SKIP_1) | instid1(VALU_DEP_2)
	v_cndmask_b32_e32 v11, 0, v11, vcc_lo
	v_cmp_lt_u32_e32 vcc_lo, 1, v10
	v_add_nc_u32_e32 v3, v11, v3
	s_delay_alu instid0(VALU_DEP_1) | instskip(NEXT) | instid1(VALU_DEP_1)
	v_mov_b32_dpp v11, v3 row_shr:2 row_mask:0xf bank_mask:0xf
	v_cndmask_b32_e32 v11, 0, v11, vcc_lo
	v_cmp_lt_u32_e32 vcc_lo, 3, v10
	s_delay_alu instid0(VALU_DEP_2) | instskip(NEXT) | instid1(VALU_DEP_1)
	v_add_nc_u32_e32 v3, v3, v11
	v_mov_b32_dpp v11, v3 row_shr:4 row_mask:0xf bank_mask:0xf
	s_delay_alu instid0(VALU_DEP_1) | instskip(SKIP_1) | instid1(VALU_DEP_2)
	v_cndmask_b32_e32 v11, 0, v11, vcc_lo
	v_cmp_lt_u32_e32 vcc_lo, 7, v10
	v_add_nc_u32_e32 v3, v3, v11
	s_delay_alu instid0(VALU_DEP_1) | instskip(NEXT) | instid1(VALU_DEP_1)
	v_mov_b32_dpp v11, v3 row_shr:8 row_mask:0xf bank_mask:0xf
	v_cndmask_b32_e32 v10, 0, v11, vcc_lo
	v_bfe_i32 v11, v6, 4, 1
	s_delay_alu instid0(VALU_DEP_2)
	v_add_nc_u32_e32 v3, v3, v10
	ds_swizzle_b32 v10, v3 offset:swizzle(BROADCAST,32,15)
	s_waitcnt lgkmcnt(0)
	v_and_b32_e32 v10, v11, v10
	v_add_nc_u32_e32 v11, 31, v7
	v_lshrrev_b32_e32 v7, 5, v1
	s_delay_alu instid0(VALU_DEP_3) | instskip(NEXT) | instid1(VALU_DEP_3)
	v_add_nc_u32_e32 v3, v3, v10
	v_cmpx_eq_u32_e64 v11, v1
	s_cbranch_execz .LBB68_4
; %bb.3:
	s_delay_alu instid0(VALU_DEP_3)
	v_lshlrev_b32_e32 v10, 2, v7
	ds_store_b32 v10, v3
.LBB68_4:
	s_or_b32 exec_lo, exec_lo, s0
	s_delay_alu instid0(SALU_CYCLE_1)
	s_mov_b32 s0, exec_lo
	s_waitcnt lgkmcnt(0)
	s_barrier
	buffer_gl0_inv
	v_cmpx_gt_u32_e32 2, v1
	s_cbranch_execz .LBB68_6
; %bb.5:
	ds_load_b32 v10, v4
	v_bfe_i32 v11, v6, 0, 1
	s_waitcnt lgkmcnt(0)
	v_mov_b32_dpp v12, v10 row_shr:1 row_mask:0xf bank_mask:0xf
	s_delay_alu instid0(VALU_DEP_1) | instskip(NEXT) | instid1(VALU_DEP_1)
	v_and_b32_e32 v11, v11, v12
	v_add_nc_u32_e32 v10, v11, v10
	ds_store_b32 v4, v10
.LBB68_6:
	s_or_b32 exec_lo, exec_lo, s0
	v_mov_b32_e32 v10, 0
	s_mov_b32 s0, exec_lo
	s_waitcnt lgkmcnt(0)
	s_barrier
	buffer_gl0_inv
	v_cmpx_lt_u32_e32 31, v1
	s_cbranch_execz .LBB68_8
; %bb.7:
	v_lshl_add_u32 v7, v7, 2, -4
	ds_load_b32 v10, v7
.LBB68_8:
	s_or_b32 exec_lo, exec_lo, s0
	v_add_nc_u32_e32 v7, -1, v6
	s_waitcnt lgkmcnt(0)
	v_add_nc_u32_e32 v3, v10, v3
	s_add_u32 s0, s6, s2
	s_addc_u32 s1, s7, s3
	v_cmp_gt_i32_e32 vcc_lo, 0, v7
	v_cndmask_b32_e32 v7, v7, v6, vcc_lo
	v_cmp_eq_u32_e32 vcc_lo, 0, v6
	s_delay_alu instid0(VALU_DEP_2) | instskip(SKIP_4) | instid1(VALU_DEP_2)
	v_lshlrev_b32_e32 v7, 2, v7
	ds_bpermute_b32 v3, v7, v3
	s_waitcnt lgkmcnt(0)
	v_cndmask_b32_e32 v3, v3, v10, vcc_lo
	v_cmp_ne_u32_e32 vcc_lo, 0, v1
	v_cndmask_b32_e32 v1, 0, v3, vcc_lo
	s_delay_alu instid0(VALU_DEP_1)
	v_add_nc_u32_e32 v2, v1, v2
	ds_store_2addr_b32 v0, v1, v2 offset0:2 offset1:3
	s_waitcnt lgkmcnt(0)
	s_barrier
	buffer_gl0_inv
	ds_load_b32 v0, v9 offset:8
	s_waitcnt lgkmcnt(0)
	s_barrier
	buffer_gl0_inv
	v_add_nc_u32_e32 v0, v0, v8
	ds_store_b32 v5, v0
	; wave barrier
	ds_load_b32 v0, v5
	s_waitcnt lgkmcnt(0)
	global_store_b32 v4, v0, s[0:1]
	s_nop 0
	s_sendmsg sendmsg(MSG_DEALLOC_VGPRS)
	s_endpgm
	.section	.rodata,"a",@progbits
	.p2align	6, 0x0
	.amdhsa_kernel _Z11rank_kernelILj37ELj1ELj4ELb0EL18RadixRankAlgorithm2EfEvPKT4_Pijj
		.amdhsa_group_segment_fixed_size 304
		.amdhsa_private_segment_fixed_size 0
		.amdhsa_kernarg_size 280
		.amdhsa_user_sgpr_count 15
		.amdhsa_user_sgpr_dispatch_ptr 0
		.amdhsa_user_sgpr_queue_ptr 0
		.amdhsa_user_sgpr_kernarg_segment_ptr 1
		.amdhsa_user_sgpr_dispatch_id 0
		.amdhsa_user_sgpr_private_segment_size 0
		.amdhsa_wavefront_size32 1
		.amdhsa_uses_dynamic_stack 0
		.amdhsa_enable_private_segment 0
		.amdhsa_system_sgpr_workgroup_id_x 1
		.amdhsa_system_sgpr_workgroup_id_y 0
		.amdhsa_system_sgpr_workgroup_id_z 0
		.amdhsa_system_sgpr_workgroup_info 0
		.amdhsa_system_vgpr_workitem_id 2
		.amdhsa_next_free_vgpr 13
		.amdhsa_next_free_sgpr 16
		.amdhsa_reserve_vcc 1
		.amdhsa_float_round_mode_32 0
		.amdhsa_float_round_mode_16_64 0
		.amdhsa_float_denorm_mode_32 3
		.amdhsa_float_denorm_mode_16_64 3
		.amdhsa_dx10_clamp 1
		.amdhsa_ieee_mode 1
		.amdhsa_fp16_overflow 0
		.amdhsa_workgroup_processor_mode 1
		.amdhsa_memory_ordered 1
		.amdhsa_forward_progress 0
		.amdhsa_shared_vgpr_count 0
		.amdhsa_exception_fp_ieee_invalid_op 0
		.amdhsa_exception_fp_denorm_src 0
		.amdhsa_exception_fp_ieee_div_zero 0
		.amdhsa_exception_fp_ieee_overflow 0
		.amdhsa_exception_fp_ieee_underflow 0
		.amdhsa_exception_fp_ieee_inexact 0
		.amdhsa_exception_int_div_zero 0
	.end_amdhsa_kernel
	.section	.text._Z11rank_kernelILj37ELj1ELj4ELb0EL18RadixRankAlgorithm2EfEvPKT4_Pijj,"axG",@progbits,_Z11rank_kernelILj37ELj1ELj4ELb0EL18RadixRankAlgorithm2EfEvPKT4_Pijj,comdat
.Lfunc_end68:
	.size	_Z11rank_kernelILj37ELj1ELj4ELb0EL18RadixRankAlgorithm2EfEvPKT4_Pijj, .Lfunc_end68-_Z11rank_kernelILj37ELj1ELj4ELb0EL18RadixRankAlgorithm2EfEvPKT4_Pijj
                                        ; -- End function
	.section	.AMDGPU.csdata,"",@progbits
; Kernel info:
; codeLenInByte = 1044
; NumSgprs: 18
; NumVgprs: 13
; ScratchSize: 0
; MemoryBound: 0
; FloatMode: 240
; IeeeMode: 1
; LDSByteSize: 304 bytes/workgroup (compile time only)
; SGPRBlocks: 2
; VGPRBlocks: 1
; NumSGPRsForWavesPerEU: 18
; NumVGPRsForWavesPerEU: 13
; Occupancy: 16
; WaveLimiterHint : 0
; COMPUTE_PGM_RSRC2:SCRATCH_EN: 0
; COMPUTE_PGM_RSRC2:USER_SGPR: 15
; COMPUTE_PGM_RSRC2:TRAP_HANDLER: 0
; COMPUTE_PGM_RSRC2:TGID_X_EN: 1
; COMPUTE_PGM_RSRC2:TGID_Y_EN: 0
; COMPUTE_PGM_RSRC2:TGID_Z_EN: 0
; COMPUTE_PGM_RSRC2:TIDIG_COMP_CNT: 2
	.section	.text._Z11rank_kernelILj65ELj1ELj4ELb0EL18RadixRankAlgorithm2EdEvPKT4_Pijj,"axG",@progbits,_Z11rank_kernelILj65ELj1ELj4ELb0EL18RadixRankAlgorithm2EdEvPKT4_Pijj,comdat
	.protected	_Z11rank_kernelILj65ELj1ELj4ELb0EL18RadixRankAlgorithm2EdEvPKT4_Pijj ; -- Begin function _Z11rank_kernelILj65ELj1ELj4ELb0EL18RadixRankAlgorithm2EdEvPKT4_Pijj
	.globl	_Z11rank_kernelILj65ELj1ELj4ELb0EL18RadixRankAlgorithm2EdEvPKT4_Pijj
	.p2align	8
	.type	_Z11rank_kernelILj65ELj1ELj4ELb0EL18RadixRankAlgorithm2EdEvPKT4_Pijj,@function
_Z11rank_kernelILj65ELj1ELj4ELb0EL18RadixRankAlgorithm2EdEvPKT4_Pijj: ; @_Z11rank_kernelILj65ELj1ELj4ELb0EL18RadixRankAlgorithm2EdEvPKT4_Pijj
; %bb.0:
	s_clause 0x1
	s_load_b128 s[4:7], s[0:1], 0x0
	s_load_b64 s[8:9], s[0:1], 0x10
	v_and_b32_e32 v1, 0x3ff, v0
	s_mov_b32 s3, 0
	s_mul_i32 s2, s15, 0x41
	v_mbcnt_lo_u32_b32 v7, -1, 0
	s_lshl_b64 s[10:11], s[2:3], 3
	v_lshlrev_b32_e32 v2, 3, v1
	v_and_b32_e32 v8, 0x60, v1
	v_bfe_u32 v9, v0, 20, 10
	v_bfe_u32 v0, v0, 10, 10
	s_delay_alu instid0(VALU_DEP_3) | instskip(NEXT) | instid1(VALU_DEP_1)
	v_or_b32_e32 v5, v7, v8
	v_lshlrev_b32_e32 v4, 3, v5
	s_waitcnt lgkmcnt(0)
	s_add_u32 s4, s4, s10
	s_addc_u32 s5, s5, s11
	global_load_b64 v[2:3], v2, s[4:5]
	s_load_b32 s4, s[0:1], 0x24
	s_and_b32 s5, s9, 63
	s_mov_b32 s0, -1
	s_waitcnt lgkmcnt(0)
	s_lshr_b32 s1, s4, 16
	s_cmp_eq_u32 s5, 0
	v_mul_u32_u24_e32 v9, s1, v9
	s_waitcnt vmcnt(0)
	ds_store_b64 v4, v[2:3]
	v_mov_b32_e32 v2, 0
	; wave barrier
	ds_load_b64 v[3:4], v4
	v_lshlrev_b32_e32 v6, 2, v1
	s_waitcnt lgkmcnt(0)
	s_barrier
	buffer_gl0_inv
	ds_store_b32 v6, v2 offset:12
	s_waitcnt lgkmcnt(0)
	s_barrier
	buffer_gl0_inv
	s_cbranch_scc1 .LBB69_2
; %bb.1:
	v_cmp_lt_i64_e32 vcc_lo, -1, v[3:4]
	v_ashrrev_i32_e32 v10, 31, v4
	s_brev_b32 s1, -2
	s_delay_alu instid0(VALU_DEP_1) | instskip(SKIP_1) | instid1(VALU_DEP_1)
	v_xor_b32_e32 v3, v10, v3
	v_cndmask_b32_e64 v2, -1, 0x80000000, vcc_lo
	v_xor_b32_e32 v4, v2, v4
	s_delay_alu instid0(VALU_DEP_1) | instskip(SKIP_1) | instid1(SALU_CYCLE_1)
	v_cmp_ne_u64_e32 vcc_lo, s[0:1], v[3:4]
	s_and_b32 s0, s8, 63
	s_add_i32 s0, s0, s5
	s_delay_alu instid0(SALU_CYCLE_1) | instskip(SKIP_2) | instid1(VALU_DEP_1)
	s_sub_i32 s0, 64, s0
	v_cndmask_b32_e32 v4, 0x80000000, v4, vcc_lo
	v_cndmask_b32_e32 v3, 0, v3, vcc_lo
	v_lshlrev_b64 v[2:3], s0, v[3:4]
	s_sub_i32 s0, 64, s5
	s_delay_alu instid0(VALU_DEP_1) | instid1(SALU_CYCLE_1)
	v_lshrrev_b64 v[2:3], s0, v[2:3]
.LBB69_2:
	s_delay_alu instid0(VALU_DEP_1) | instskip(SKIP_3) | instid1(VALU_DEP_4)
	v_and_b32_e32 v3, 1, v2
	v_lshlrev_b32_e32 v4, 30, v2
	v_lshlrev_b32_e32 v11, 29, v2
	v_add_nc_u32_e32 v0, v9, v0
	v_add_co_u32 v3, s0, v3, -1
	s_delay_alu instid0(VALU_DEP_1) | instskip(SKIP_3) | instid1(VALU_DEP_4)
	v_cndmask_b32_e64 v10, 0, 1, s0
	v_not_b32_e32 v12, v4
	v_cmp_gt_i32_e64 s0, 0, v4
	v_not_b32_e32 v4, v11
	; wave barrier
	v_cmp_ne_u32_e32 vcc_lo, 0, v10
	v_lshlrev_b32_e32 v10, 28, v2
	v_ashrrev_i32_e32 v12, 31, v12
	s_delay_alu instid0(VALU_DEP_4)
	v_ashrrev_i32_e32 v4, 31, v4
	v_xor_b32_e32 v3, vcc_lo, v3
	v_cmp_gt_i32_e32 vcc_lo, 0, v11
	v_not_b32_e32 v11, v10
	v_xor_b32_e32 v12, s0, v12
	v_cmp_gt_i32_e64 s0, 0, v10
	v_and_b32_e32 v3, exec_lo, v3
	v_xor_b32_e32 v4, vcc_lo, v4
	v_ashrrev_i32_e32 v10, 31, v11
	s_delay_alu instid0(VALU_DEP_3) | instskip(NEXT) | instid1(VALU_DEP_2)
	v_and_b32_e32 v3, v3, v12
	v_xor_b32_e32 v11, s0, v10
	s_and_b32 s0, s4, 0xffff
	s_delay_alu instid0(SALU_CYCLE_1) | instskip(NEXT) | instid1(VALU_DEP_3)
	v_mad_u64_u32 v[9:10], null, v0, s0, v[1:2]
	v_and_b32_e32 v3, v3, v4
	v_lshl_add_u32 v2, v2, 1, v2
	s_delay_alu instid0(VALU_DEP_2) | instskip(NEXT) | instid1(VALU_DEP_4)
	v_and_b32_e32 v3, v3, v11
	v_lshrrev_b32_e32 v4, 5, v9
	s_delay_alu instid0(VALU_DEP_2) | instskip(SKIP_1) | instid1(VALU_DEP_3)
	v_mbcnt_lo_u32_b32 v0, v3, 0
	v_cmp_ne_u32_e64 s0, 0, v3
	v_add_lshl_u32 v2, v2, v4, 2
	s_delay_alu instid0(VALU_DEP_3) | instskip(NEXT) | instid1(VALU_DEP_3)
	v_cmp_eq_u32_e32 vcc_lo, 0, v0
	s_and_b32 s1, s0, vcc_lo
	s_delay_alu instid0(SALU_CYCLE_1)
	s_and_saveexec_b32 s0, s1
	s_cbranch_execz .LBB69_4
; %bb.3:
	v_bcnt_u32_b32 v3, v3, 0
	ds_store_b32 v2, v3 offset:12
.LBB69_4:
	s_or_b32 exec_lo, exec_lo, s0
	; wave barrier
	s_waitcnt lgkmcnt(0)
	s_barrier
	buffer_gl0_inv
	ds_load_b32 v3, v6 offset:12
	v_min_u32_e32 v8, 33, v8
	s_mov_b32 s0, exec_lo
	s_delay_alu instid0(VALU_DEP_1) | instskip(SKIP_3) | instid1(VALU_DEP_1)
	v_add_nc_u32_e32 v8, 31, v8
	s_waitcnt lgkmcnt(0)
	v_mov_b32_dpp v9, v3 row_shr:1 row_mask:0xf bank_mask:0xf
	v_and_b32_e32 v4, 15, v7
	v_cmp_ne_u32_e32 vcc_lo, 0, v4
	s_delay_alu instid0(VALU_DEP_3) | instskip(SKIP_1) | instid1(VALU_DEP_2)
	v_cndmask_b32_e32 v9, 0, v9, vcc_lo
	v_cmp_lt_u32_e32 vcc_lo, 1, v4
	v_add_nc_u32_e32 v3, v9, v3
	s_delay_alu instid0(VALU_DEP_1) | instskip(NEXT) | instid1(VALU_DEP_1)
	v_mov_b32_dpp v9, v3 row_shr:2 row_mask:0xf bank_mask:0xf
	v_cndmask_b32_e32 v9, 0, v9, vcc_lo
	v_cmp_lt_u32_e32 vcc_lo, 3, v4
	s_delay_alu instid0(VALU_DEP_2) | instskip(NEXT) | instid1(VALU_DEP_1)
	v_add_nc_u32_e32 v3, v3, v9
	v_mov_b32_dpp v9, v3 row_shr:4 row_mask:0xf bank_mask:0xf
	s_delay_alu instid0(VALU_DEP_1) | instskip(SKIP_1) | instid1(VALU_DEP_2)
	v_cndmask_b32_e32 v9, 0, v9, vcc_lo
	v_cmp_lt_u32_e32 vcc_lo, 7, v4
	v_add_nc_u32_e32 v3, v3, v9
	s_delay_alu instid0(VALU_DEP_1) | instskip(NEXT) | instid1(VALU_DEP_1)
	v_mov_b32_dpp v9, v3 row_shr:8 row_mask:0xf bank_mask:0xf
	v_cndmask_b32_e32 v4, 0, v9, vcc_lo
	v_bfe_i32 v9, v7, 4, 1
	s_delay_alu instid0(VALU_DEP_2) | instskip(SKIP_4) | instid1(VALU_DEP_2)
	v_add_nc_u32_e32 v3, v3, v4
	ds_swizzle_b32 v4, v3 offset:swizzle(BROADCAST,32,15)
	s_waitcnt lgkmcnt(0)
	v_and_b32_e32 v9, v9, v4
	v_lshrrev_b32_e32 v4, 5, v1
	v_add_nc_u32_e32 v3, v3, v9
	v_cmpx_eq_u32_e64 v8, v1
	s_cbranch_execz .LBB69_6
; %bb.5:
	s_delay_alu instid0(VALU_DEP_3)
	v_lshlrev_b32_e32 v8, 2, v4
	ds_store_b32 v8, v3
.LBB69_6:
	s_or_b32 exec_lo, exec_lo, s0
	s_delay_alu instid0(SALU_CYCLE_1)
	s_mov_b32 s0, exec_lo
	s_waitcnt lgkmcnt(0)
	s_barrier
	buffer_gl0_inv
	v_cmpx_gt_u32_e32 3, v1
	s_cbranch_execz .LBB69_8
; %bb.7:
	ds_load_b32 v8, v6
	s_waitcnt lgkmcnt(0)
	v_mov_b32_dpp v10, v8 row_shr:1 row_mask:0xf bank_mask:0xf
	v_and_b32_e32 v9, 3, v7
	s_delay_alu instid0(VALU_DEP_1) | instskip(NEXT) | instid1(VALU_DEP_3)
	v_cmp_ne_u32_e32 vcc_lo, 0, v9
	v_cndmask_b32_e32 v10, 0, v10, vcc_lo
	v_cmp_lt_u32_e32 vcc_lo, 1, v9
	s_delay_alu instid0(VALU_DEP_2) | instskip(NEXT) | instid1(VALU_DEP_1)
	v_add_nc_u32_e32 v8, v10, v8
	v_mov_b32_dpp v10, v8 row_shr:2 row_mask:0xf bank_mask:0xf
	s_delay_alu instid0(VALU_DEP_1) | instskip(NEXT) | instid1(VALU_DEP_1)
	v_cndmask_b32_e32 v9, 0, v10, vcc_lo
	v_add_nc_u32_e32 v8, v8, v9
	ds_store_b32 v6, v8
.LBB69_8:
	s_or_b32 exec_lo, exec_lo, s0
	v_cmp_lt_u32_e32 vcc_lo, 31, v1
	v_mov_b32_e32 v1, 0
	s_waitcnt lgkmcnt(0)
	s_barrier
	buffer_gl0_inv
	s_and_saveexec_b32 s0, vcc_lo
	s_cbranch_execz .LBB69_10
; %bb.9:
	v_lshl_add_u32 v1, v4, 2, -4
	ds_load_b32 v1, v1
.LBB69_10:
	s_or_b32 exec_lo, exec_lo, s0
	v_add_nc_u32_e32 v4, -1, v7
	s_waitcnt lgkmcnt(0)
	v_add_nc_u32_e32 v3, v1, v3
	s_lshl_b64 s[0:1], s[2:3], 2
	s_delay_alu instid0(SALU_CYCLE_1) | instskip(SKIP_4) | instid1(VALU_DEP_2)
	s_add_u32 s0, s6, s0
	v_cmp_gt_i32_e32 vcc_lo, 0, v4
	s_addc_u32 s1, s7, s1
	v_cndmask_b32_e32 v4, v4, v7, vcc_lo
	v_cmp_eq_u32_e32 vcc_lo, 0, v7
	v_lshlrev_b32_e32 v4, 2, v4
	ds_bpermute_b32 v3, v4, v3
	s_waitcnt lgkmcnt(0)
	v_cndmask_b32_e32 v1, v3, v1, vcc_lo
	ds_store_b32 v6, v1 offset:12
	s_waitcnt lgkmcnt(0)
	s_barrier
	buffer_gl0_inv
	ds_load_b32 v1, v2 offset:12
	v_lshlrev_b32_e32 v2, 2, v5
	s_waitcnt lgkmcnt(0)
	s_barrier
	buffer_gl0_inv
	v_add_nc_u32_e32 v0, v1, v0
	ds_store_b32 v2, v0
	; wave barrier
	ds_load_b32 v0, v2
	s_waitcnt lgkmcnt(0)
	global_store_b32 v6, v0, s[0:1]
	s_nop 0
	s_sendmsg sendmsg(MSG_DEALLOC_VGPRS)
	s_endpgm
	.section	.rodata,"a",@progbits
	.p2align	6, 0x0
	.amdhsa_kernel _Z11rank_kernelILj65ELj1ELj4ELb0EL18RadixRankAlgorithm2EdEvPKT4_Pijj
		.amdhsa_group_segment_fixed_size 528
		.amdhsa_private_segment_fixed_size 0
		.amdhsa_kernarg_size 280
		.amdhsa_user_sgpr_count 15
		.amdhsa_user_sgpr_dispatch_ptr 0
		.amdhsa_user_sgpr_queue_ptr 0
		.amdhsa_user_sgpr_kernarg_segment_ptr 1
		.amdhsa_user_sgpr_dispatch_id 0
		.amdhsa_user_sgpr_private_segment_size 0
		.amdhsa_wavefront_size32 1
		.amdhsa_uses_dynamic_stack 0
		.amdhsa_enable_private_segment 0
		.amdhsa_system_sgpr_workgroup_id_x 1
		.amdhsa_system_sgpr_workgroup_id_y 0
		.amdhsa_system_sgpr_workgroup_id_z 0
		.amdhsa_system_sgpr_workgroup_info 0
		.amdhsa_system_vgpr_workitem_id 2
		.amdhsa_next_free_vgpr 13
		.amdhsa_next_free_sgpr 16
		.amdhsa_reserve_vcc 1
		.amdhsa_float_round_mode_32 0
		.amdhsa_float_round_mode_16_64 0
		.amdhsa_float_denorm_mode_32 3
		.amdhsa_float_denorm_mode_16_64 3
		.amdhsa_dx10_clamp 1
		.amdhsa_ieee_mode 1
		.amdhsa_fp16_overflow 0
		.amdhsa_workgroup_processor_mode 1
		.amdhsa_memory_ordered 1
		.amdhsa_forward_progress 0
		.amdhsa_shared_vgpr_count 0
		.amdhsa_exception_fp_ieee_invalid_op 0
		.amdhsa_exception_fp_denorm_src 0
		.amdhsa_exception_fp_ieee_div_zero 0
		.amdhsa_exception_fp_ieee_overflow 0
		.amdhsa_exception_fp_ieee_underflow 0
		.amdhsa_exception_fp_ieee_inexact 0
		.amdhsa_exception_int_div_zero 0
	.end_amdhsa_kernel
	.section	.text._Z11rank_kernelILj65ELj1ELj4ELb0EL18RadixRankAlgorithm2EdEvPKT4_Pijj,"axG",@progbits,_Z11rank_kernelILj65ELj1ELj4ELb0EL18RadixRankAlgorithm2EdEvPKT4_Pijj,comdat
.Lfunc_end69:
	.size	_Z11rank_kernelILj65ELj1ELj4ELb0EL18RadixRankAlgorithm2EdEvPKT4_Pijj, .Lfunc_end69-_Z11rank_kernelILj65ELj1ELj4ELb0EL18RadixRankAlgorithm2EdEvPKT4_Pijj
                                        ; -- End function
	.section	.AMDGPU.csdata,"",@progbits
; Kernel info:
; codeLenInByte = 1088
; NumSgprs: 18
; NumVgprs: 13
; ScratchSize: 0
; MemoryBound: 0
; FloatMode: 240
; IeeeMode: 1
; LDSByteSize: 528 bytes/workgroup (compile time only)
; SGPRBlocks: 2
; VGPRBlocks: 1
; NumSGPRsForWavesPerEU: 18
; NumVGPRsForWavesPerEU: 13
; Occupancy: 16
; WaveLimiterHint : 0
; COMPUTE_PGM_RSRC2:SCRATCH_EN: 0
; COMPUTE_PGM_RSRC2:USER_SGPR: 15
; COMPUTE_PGM_RSRC2:TRAP_HANDLER: 0
; COMPUTE_PGM_RSRC2:TGID_X_EN: 1
; COMPUTE_PGM_RSRC2:TGID_Y_EN: 0
; COMPUTE_PGM_RSRC2:TGID_Z_EN: 0
; COMPUTE_PGM_RSRC2:TIDIG_COMP_CNT: 2
	.section	.text._Z11rank_kernelILj512ELj1ELj4ELb1EL18RadixRankAlgorithm2EtEvPKT4_Pijj,"axG",@progbits,_Z11rank_kernelILj512ELj1ELj4ELb1EL18RadixRankAlgorithm2EtEvPKT4_Pijj,comdat
	.protected	_Z11rank_kernelILj512ELj1ELj4ELb1EL18RadixRankAlgorithm2EtEvPKT4_Pijj ; -- Begin function _Z11rank_kernelILj512ELj1ELj4ELb1EL18RadixRankAlgorithm2EtEvPKT4_Pijj
	.globl	_Z11rank_kernelILj512ELj1ELj4ELb1EL18RadixRankAlgorithm2EtEvPKT4_Pijj
	.p2align	8
	.type	_Z11rank_kernelILj512ELj1ELj4ELb1EL18RadixRankAlgorithm2EtEvPKT4_Pijj,@function
_Z11rank_kernelILj512ELj1ELj4ELb1EL18RadixRankAlgorithm2EtEvPKT4_Pijj: ; @_Z11rank_kernelILj512ELj1ELj4ELb1EL18RadixRankAlgorithm2EtEvPKT4_Pijj
; %bb.0:
	s_clause 0x1
	s_load_b128 s[4:7], s[0:1], 0x0
	s_load_b64 s[10:11], s[0:1], 0x10
	v_and_b32_e32 v1, 0x3ff, v0
	s_mov_b32 s9, 0
	s_lshl_b32 s8, s15, 9
	v_mbcnt_lo_u32_b32 v3, -1, 0
	s_lshl_b64 s[2:3], s[8:9], 1
	v_lshlrev_b32_e32 v2, 1, v1
	v_and_b32_e32 v4, 0x1e0, v1
	s_load_b32 s0, s[0:1], 0x24
	v_bfe_u32 v9, v0, 10, 10
	v_bfe_u32 v0, v0, 20, 10
	s_waitcnt lgkmcnt(0)
	s_add_u32 s2, s4, s2
	s_addc_u32 s3, s5, s3
	s_and_b32 s1, s11, 31
	global_load_u16 v5, v2, s[2:3]
	v_or_b32_e32 v2, v3, v4
	s_and_b32 s2, s10, 31
	s_delay_alu instid0(SALU_CYCLE_1) | instskip(NEXT) | instid1(VALU_DEP_1)
	s_add_i32 s2, s2, s1
	v_lshlrev_b32_e32 v6, 1, v2
	s_sub_i32 s2, 32, s2
	s_and_b32 s3, s0, 0xffff
	s_waitcnt vmcnt(0)
	ds_store_b16 v6, v5
	; wave barrier
	ds_load_u16 v5, v6
	s_waitcnt lgkmcnt(0)
	s_barrier
	buffer_gl0_inv
	v_lshlrev_b32_e32 v5, s2, v5
	s_sub_i32 s2, 32, s1
	s_delay_alu instid0(VALU_DEP_1) | instid1(SALU_CYCLE_1)
	v_bfe_u32 v5, v5, s2, 16
	s_lshr_b32 s2, s0, 16
	s_cmp_lg_u32 s1, 0
	v_mad_u32_u24 v0, v0, s2, v9
	s_cselect_b32 vcc_lo, -1, 0
	v_xor_b32_e32 v5, 15, v5
	s_delay_alu instid0(VALU_DEP_1) | instskip(NEXT) | instid1(VALU_DEP_1)
	v_cndmask_b32_e32 v8, 15, v5, vcc_lo
	v_and_b32_e32 v5, 1, v8
	v_lshlrev_b32_e32 v6, 30, v8
	v_lshlrev_b32_e32 v10, 29, v8
	s_delay_alu instid0(VALU_DEP_3) | instskip(NEXT) | instid1(VALU_DEP_1)
	v_add_co_u32 v5, s0, v5, -1
	v_cndmask_b32_e64 v7, 0, 1, s0
	s_delay_alu instid0(VALU_DEP_4) | instskip(SKIP_2) | instid1(VALU_DEP_4)
	v_not_b32_e32 v11, v6
	v_cmp_gt_i32_e64 s0, 0, v6
	v_not_b32_e32 v6, v10
	v_cmp_ne_u32_e32 vcc_lo, 0, v7
	v_lshlrev_b32_e32 v7, 28, v8
	v_ashrrev_i32_e32 v11, 31, v11
	s_delay_alu instid0(VALU_DEP_4)
	v_ashrrev_i32_e32 v6, 31, v6
	v_mul_u32_u24_e32 v8, 17, v8
	v_xor_b32_e32 v5, vcc_lo, v5
	v_cmp_gt_i32_e32 vcc_lo, 0, v10
	v_not_b32_e32 v10, v7
	v_xor_b32_e32 v11, s0, v11
	v_cmp_gt_i32_e64 s0, 0, v7
	v_and_b32_e32 v5, exec_lo, v5
	v_xor_b32_e32 v9, vcc_lo, v6
	v_ashrrev_i32_e32 v7, 31, v10
	s_delay_alu instid0(VALU_DEP_3) | instskip(SKIP_1) | instid1(VALU_DEP_3)
	v_and_b32_e32 v10, v5, v11
	v_mad_u64_u32 v[5:6], null, v0, s3, v[1:2]
	v_xor_b32_e32 v0, s0, v7
	s_delay_alu instid0(VALU_DEP_3) | instskip(NEXT) | instid1(VALU_DEP_1)
	v_dual_mov_b32 v9, 0 :: v_dual_and_b32 v6, v10, v9
	v_and_b32_e32 v7, v6, v0
	s_delay_alu instid0(VALU_DEP_4) | instskip(SKIP_1) | instid1(VALU_DEP_3)
	v_lshrrev_b32_e32 v6, 5, v5
	v_lshlrev_b32_e32 v0, 2, v1
	v_mbcnt_lo_u32_b32 v5, v7, 0
	v_cmp_ne_u32_e64 s0, 0, v7
	s_delay_alu instid0(VALU_DEP_4)
	v_add_lshl_u32 v6, v6, v8, 2
	ds_store_b32 v0, v9 offset:64
	s_waitcnt lgkmcnt(0)
	v_cmp_eq_u32_e32 vcc_lo, 0, v5
	s_barrier
	buffer_gl0_inv
	; wave barrier
	s_and_b32 s1, s0, vcc_lo
	s_delay_alu instid0(SALU_CYCLE_1)
	s_and_saveexec_b32 s0, s1
	s_cbranch_execz .LBB70_2
; %bb.1:
	v_bcnt_u32_b32 v7, v7, 0
	ds_store_b32 v6, v7 offset:64
.LBB70_2:
	s_or_b32 exec_lo, exec_lo, s0
	; wave barrier
	s_waitcnt lgkmcnt(0)
	s_barrier
	buffer_gl0_inv
	ds_load_b32 v7, v0 offset:64
	v_and_b32_e32 v8, 15, v3
	v_min_u32_e32 v4, 0x1e0, v4
	s_mov_b32 s4, exec_lo
	s_delay_alu instid0(VALU_DEP_2)
	v_cmp_eq_u32_e32 vcc_lo, 0, v8
	v_cmp_lt_u32_e64 s0, 1, v8
	v_cmp_lt_u32_e64 s1, 3, v8
	;; [unrolled: 1-line block ×3, first 2 shown]
	v_or_b32_e32 v10, 31, v4
	s_waitcnt lgkmcnt(0)
	v_mov_b32_dpp v9, v7 row_shr:1 row_mask:0xf bank_mask:0xf
	s_delay_alu instid0(VALU_DEP_1) | instskip(NEXT) | instid1(VALU_DEP_1)
	v_cndmask_b32_e64 v9, v9, 0, vcc_lo
	v_add_nc_u32_e32 v7, v9, v7
	s_delay_alu instid0(VALU_DEP_1) | instskip(NEXT) | instid1(VALU_DEP_1)
	v_mov_b32_dpp v9, v7 row_shr:2 row_mask:0xf bank_mask:0xf
	v_cndmask_b32_e64 v9, 0, v9, s0
	s_delay_alu instid0(VALU_DEP_1) | instskip(NEXT) | instid1(VALU_DEP_1)
	v_add_nc_u32_e32 v7, v7, v9
	v_mov_b32_dpp v9, v7 row_shr:4 row_mask:0xf bank_mask:0xf
	s_delay_alu instid0(VALU_DEP_1) | instskip(NEXT) | instid1(VALU_DEP_1)
	v_cndmask_b32_e64 v9, 0, v9, s1
	v_add_nc_u32_e32 v7, v7, v9
	s_delay_alu instid0(VALU_DEP_1) | instskip(NEXT) | instid1(VALU_DEP_1)
	v_mov_b32_dpp v9, v7 row_shr:8 row_mask:0xf bank_mask:0xf
	v_cndmask_b32_e64 v8, 0, v9, s2
	v_bfe_i32 v9, v3, 4, 1
	s_delay_alu instid0(VALU_DEP_2) | instskip(SKIP_4) | instid1(VALU_DEP_2)
	v_add_nc_u32_e32 v8, v7, v8
	ds_swizzle_b32 v7, v8 offset:swizzle(BROADCAST,32,15)
	s_waitcnt lgkmcnt(0)
	v_and_b32_e32 v9, v9, v7
	v_lshrrev_b32_e32 v7, 5, v1
	v_add_nc_u32_e32 v4, v8, v9
	v_cmpx_eq_u32_e64 v10, v1
	s_cbranch_execz .LBB70_4
; %bb.3:
	s_delay_alu instid0(VALU_DEP_3)
	v_lshlrev_b32_e32 v8, 2, v7
	ds_store_b32 v8, v4
.LBB70_4:
	s_or_b32 exec_lo, exec_lo, s4
	s_delay_alu instid0(SALU_CYCLE_1)
	s_mov_b32 s4, exec_lo
	s_waitcnt lgkmcnt(0)
	s_barrier
	buffer_gl0_inv
	v_cmpx_gt_u32_e32 16, v1
	s_cbranch_execz .LBB70_6
; %bb.5:
	ds_load_b32 v8, v0
	s_waitcnt lgkmcnt(0)
	v_mov_b32_dpp v9, v8 row_shr:1 row_mask:0xf bank_mask:0xf
	s_delay_alu instid0(VALU_DEP_1) | instskip(NEXT) | instid1(VALU_DEP_1)
	v_cndmask_b32_e64 v9, v9, 0, vcc_lo
	v_add_nc_u32_e32 v8, v9, v8
	s_delay_alu instid0(VALU_DEP_1) | instskip(NEXT) | instid1(VALU_DEP_1)
	v_mov_b32_dpp v9, v8 row_shr:2 row_mask:0xf bank_mask:0xf
	v_cndmask_b32_e64 v9, 0, v9, s0
	s_delay_alu instid0(VALU_DEP_1) | instskip(NEXT) | instid1(VALU_DEP_1)
	v_add_nc_u32_e32 v8, v8, v9
	v_mov_b32_dpp v9, v8 row_shr:4 row_mask:0xf bank_mask:0xf
	s_delay_alu instid0(VALU_DEP_1) | instskip(NEXT) | instid1(VALU_DEP_1)
	v_cndmask_b32_e64 v9, 0, v9, s1
	v_add_nc_u32_e32 v8, v8, v9
	s_delay_alu instid0(VALU_DEP_1) | instskip(NEXT) | instid1(VALU_DEP_1)
	v_mov_b32_dpp v9, v8 row_shr:8 row_mask:0xf bank_mask:0xf
	v_cndmask_b32_e64 v9, 0, v9, s2
	s_delay_alu instid0(VALU_DEP_1)
	v_add_nc_u32_e32 v8, v8, v9
	ds_store_b32 v0, v8
.LBB70_6:
	s_or_b32 exec_lo, exec_lo, s4
	v_cmp_lt_u32_e32 vcc_lo, 31, v1
	v_mov_b32_e32 v1, 0
	s_waitcnt lgkmcnt(0)
	s_barrier
	buffer_gl0_inv
	s_and_saveexec_b32 s0, vcc_lo
	s_cbranch_execz .LBB70_8
; %bb.7:
	v_lshl_add_u32 v1, v7, 2, -4
	ds_load_b32 v1, v1
.LBB70_8:
	s_or_b32 exec_lo, exec_lo, s0
	v_add_nc_u32_e32 v7, -1, v3
	s_lshl_b64 s[0:1], s[8:9], 2
	s_waitcnt lgkmcnt(0)
	v_add_nc_u32_e32 v4, v1, v4
	s_add_u32 s0, s6, s0
	s_addc_u32 s1, s7, s1
	v_cmp_gt_i32_e32 vcc_lo, 0, v7
	v_dual_cndmask_b32 v7, v7, v3 :: v_dual_lshlrev_b32 v2, 2, v2
	v_cmp_eq_u32_e32 vcc_lo, 0, v3
	s_delay_alu instid0(VALU_DEP_2)
	v_lshlrev_b32_e32 v7, 2, v7
	ds_bpermute_b32 v4, v7, v4
	s_waitcnt lgkmcnt(0)
	v_cndmask_b32_e32 v1, v4, v1, vcc_lo
	ds_store_b32 v0, v1 offset:64
	s_waitcnt lgkmcnt(0)
	s_barrier
	buffer_gl0_inv
	ds_load_b32 v1, v6 offset:64
	s_waitcnt lgkmcnt(0)
	s_barrier
	buffer_gl0_inv
	v_add_nc_u32_e32 v1, v1, v5
	ds_store_b32 v2, v1
	; wave barrier
	ds_load_b32 v1, v2
	s_waitcnt lgkmcnt(0)
	global_store_b32 v0, v1, s[0:1]
	s_nop 0
	s_sendmsg sendmsg(MSG_DEALLOC_VGPRS)
	s_endpgm
	.section	.rodata,"a",@progbits
	.p2align	6, 0x0
	.amdhsa_kernel _Z11rank_kernelILj512ELj1ELj4ELb1EL18RadixRankAlgorithm2EtEvPKT4_Pijj
		.amdhsa_group_segment_fixed_size 2112
		.amdhsa_private_segment_fixed_size 0
		.amdhsa_kernarg_size 280
		.amdhsa_user_sgpr_count 15
		.amdhsa_user_sgpr_dispatch_ptr 0
		.amdhsa_user_sgpr_queue_ptr 0
		.amdhsa_user_sgpr_kernarg_segment_ptr 1
		.amdhsa_user_sgpr_dispatch_id 0
		.amdhsa_user_sgpr_private_segment_size 0
		.amdhsa_wavefront_size32 1
		.amdhsa_uses_dynamic_stack 0
		.amdhsa_enable_private_segment 0
		.amdhsa_system_sgpr_workgroup_id_x 1
		.amdhsa_system_sgpr_workgroup_id_y 0
		.amdhsa_system_sgpr_workgroup_id_z 0
		.amdhsa_system_sgpr_workgroup_info 0
		.amdhsa_system_vgpr_workitem_id 2
		.amdhsa_next_free_vgpr 12
		.amdhsa_next_free_sgpr 16
		.amdhsa_reserve_vcc 1
		.amdhsa_float_round_mode_32 0
		.amdhsa_float_round_mode_16_64 0
		.amdhsa_float_denorm_mode_32 3
		.amdhsa_float_denorm_mode_16_64 3
		.amdhsa_dx10_clamp 1
		.amdhsa_ieee_mode 1
		.amdhsa_fp16_overflow 0
		.amdhsa_workgroup_processor_mode 1
		.amdhsa_memory_ordered 1
		.amdhsa_forward_progress 0
		.amdhsa_shared_vgpr_count 0
		.amdhsa_exception_fp_ieee_invalid_op 0
		.amdhsa_exception_fp_denorm_src 0
		.amdhsa_exception_fp_ieee_div_zero 0
		.amdhsa_exception_fp_ieee_overflow 0
		.amdhsa_exception_fp_ieee_underflow 0
		.amdhsa_exception_fp_ieee_inexact 0
		.amdhsa_exception_int_div_zero 0
	.end_amdhsa_kernel
	.section	.text._Z11rank_kernelILj512ELj1ELj4ELb1EL18RadixRankAlgorithm2EtEvPKT4_Pijj,"axG",@progbits,_Z11rank_kernelILj512ELj1ELj4ELb1EL18RadixRankAlgorithm2EtEvPKT4_Pijj,comdat
.Lfunc_end70:
	.size	_Z11rank_kernelILj512ELj1ELj4ELb1EL18RadixRankAlgorithm2EtEvPKT4_Pijj, .Lfunc_end70-_Z11rank_kernelILj512ELj1ELj4ELb1EL18RadixRankAlgorithm2EtEvPKT4_Pijj
                                        ; -- End function
	.section	.AMDGPU.csdata,"",@progbits
; Kernel info:
; codeLenInByte = 1096
; NumSgprs: 18
; NumVgprs: 12
; ScratchSize: 0
; MemoryBound: 0
; FloatMode: 240
; IeeeMode: 1
; LDSByteSize: 2112 bytes/workgroup (compile time only)
; SGPRBlocks: 2
; VGPRBlocks: 1
; NumSGPRsForWavesPerEU: 18
; NumVGPRsForWavesPerEU: 12
; Occupancy: 16
; WaveLimiterHint : 0
; COMPUTE_PGM_RSRC2:SCRATCH_EN: 0
; COMPUTE_PGM_RSRC2:USER_SGPR: 15
; COMPUTE_PGM_RSRC2:TRAP_HANDLER: 0
; COMPUTE_PGM_RSRC2:TGID_X_EN: 1
; COMPUTE_PGM_RSRC2:TGID_Y_EN: 0
; COMPUTE_PGM_RSRC2:TGID_Z_EN: 0
; COMPUTE_PGM_RSRC2:TIDIG_COMP_CNT: 2
	.section	.text._Z11rank_kernelILj256ELj1ELj4ELb0EL18RadixRankAlgorithm2EfEvPKT4_Pijj,"axG",@progbits,_Z11rank_kernelILj256ELj1ELj4ELb0EL18RadixRankAlgorithm2EfEvPKT4_Pijj,comdat
	.protected	_Z11rank_kernelILj256ELj1ELj4ELb0EL18RadixRankAlgorithm2EfEvPKT4_Pijj ; -- Begin function _Z11rank_kernelILj256ELj1ELj4ELb0EL18RadixRankAlgorithm2EfEvPKT4_Pijj
	.globl	_Z11rank_kernelILj256ELj1ELj4ELb0EL18RadixRankAlgorithm2EfEvPKT4_Pijj
	.p2align	8
	.type	_Z11rank_kernelILj256ELj1ELj4ELb0EL18RadixRankAlgorithm2EfEvPKT4_Pijj,@function
_Z11rank_kernelILj256ELj1ELj4ELb0EL18RadixRankAlgorithm2EfEvPKT4_Pijj: ; @_Z11rank_kernelILj256ELj1ELj4ELb0EL18RadixRankAlgorithm2EfEvPKT4_Pijj
; %bb.0:
	s_clause 0x1
	s_load_b128 s[4:7], s[0:1], 0x0
	s_load_b64 s[8:9], s[0:1], 0x10
	v_and_b32_e32 v1, 0x3ff, v0
	s_mov_b32 s3, 0
	s_lshl_b32 s2, s15, 8
	v_mbcnt_lo_u32_b32 v4, -1, 0
	s_lshl_b64 s[2:3], s[2:3], 2
	v_lshlrev_b32_e32 v2, 2, v1
	v_and_b32_e32 v5, 0xe0, v1
	s_load_b32 s0, s[0:1], 0x24
	v_bfe_u32 v10, v0, 10, 10
	v_bfe_u32 v0, v0, 20, 10
	s_delay_alu instid0(VALU_DEP_3) | instskip(NEXT) | instid1(VALU_DEP_1)
	v_or_b32_e32 v3, v4, v5
	v_lshlrev_b32_e32 v3, 2, v3
	s_waitcnt lgkmcnt(0)
	s_add_u32 s4, s4, s2
	s_addc_u32 s5, s5, s3
	s_and_b32 s1, s9, 31
	global_load_b32 v6, v2, s[4:5]
	s_and_b32 s4, s8, 31
	s_delay_alu instid0(SALU_CYCLE_1) | instskip(NEXT) | instid1(SALU_CYCLE_1)
	s_add_i32 s4, s4, s1
	s_sub_i32 s4, 32, s4
	s_lshr_b32 s5, s0, 16
	s_delay_alu instid0(SALU_CYCLE_1)
	v_mad_u32_u24 v0, v0, s5, v10
	s_waitcnt vmcnt(0)
	ds_store_b32 v3, v6
	; wave barrier
	ds_load_b32 v6, v3
	s_waitcnt lgkmcnt(0)
	s_barrier
	buffer_gl0_inv
	v_cmp_lt_i32_e32 vcc_lo, -1, v6
	v_cndmask_b32_e64 v7, -1, 0x80000000, vcc_lo
	s_delay_alu instid0(VALU_DEP_1) | instskip(NEXT) | instid1(VALU_DEP_1)
	v_xor_b32_e32 v6, v7, v6
	v_cmp_ne_u32_e32 vcc_lo, 0x7fffffff, v6
	v_cndmask_b32_e32 v6, 0x80000000, v6, vcc_lo
	s_delay_alu instid0(VALU_DEP_1)
	v_lshlrev_b32_e32 v6, s4, v6
	s_sub_i32 s4, 32, s1
	s_delay_alu instid0(VALU_DEP_1) | instid1(SALU_CYCLE_1)
	v_lshrrev_b32_e32 v6, s4, v6
	s_and_b32 s4, s0, 0xffff
	s_cmp_lg_u32 s1, 0
	s_cselect_b32 vcc_lo, -1, 0
	s_delay_alu instid0(VALU_DEP_1) | instskip(NEXT) | instid1(VALU_DEP_1)
	v_cndmask_b32_e32 v8, 0, v6, vcc_lo
	v_and_b32_e32 v6, 1, v8
	v_lshlrev_b32_e32 v7, 30, v8
	v_lshlrev_b32_e32 v11, 29, v8
	s_delay_alu instid0(VALU_DEP_3) | instskip(NEXT) | instid1(VALU_DEP_1)
	v_add_co_u32 v6, s0, v6, -1
	v_cndmask_b32_e64 v9, 0, 1, s0
	s_delay_alu instid0(VALU_DEP_4) | instskip(SKIP_2) | instid1(VALU_DEP_4)
	v_not_b32_e32 v12, v7
	v_cmp_gt_i32_e64 s0, 0, v7
	v_not_b32_e32 v7, v11
	v_cmp_ne_u32_e32 vcc_lo, 0, v9
	v_lshlrev_b32_e32 v9, 28, v8
	v_ashrrev_i32_e32 v12, 31, v12
	s_delay_alu instid0(VALU_DEP_4)
	v_ashrrev_i32_e32 v7, 31, v7
	v_lshl_add_u32 v8, v8, 3, v8
	v_xor_b32_e32 v6, vcc_lo, v6
	v_cmp_gt_i32_e32 vcc_lo, 0, v11
	v_not_b32_e32 v11, v9
	v_xor_b32_e32 v12, s0, v12
	v_cmp_gt_i32_e64 s0, 0, v9
	v_and_b32_e32 v6, exec_lo, v6
	v_xor_b32_e32 v10, vcc_lo, v7
	v_ashrrev_i32_e32 v9, 31, v11
	s_delay_alu instid0(VALU_DEP_3) | instskip(SKIP_1) | instid1(VALU_DEP_3)
	v_and_b32_e32 v11, v6, v12
	v_mad_u64_u32 v[6:7], null, v0, s4, v[1:2]
	v_xor_b32_e32 v0, s0, v9
	v_mov_b32_e32 v9, 0
	s_delay_alu instid0(VALU_DEP_4) | instskip(NEXT) | instid1(VALU_DEP_4)
	v_and_b32_e32 v7, v11, v10
	v_lshrrev_b32_e32 v6, 5, v6
	s_delay_alu instid0(VALU_DEP_2)
	v_and_b32_e32 v7, v7, v0
	ds_store_b32 v2, v9 offset:32
	s_waitcnt lgkmcnt(0)
	s_barrier
	v_add_lshl_u32 v6, v6, v8, 2
	v_mbcnt_lo_u32_b32 v0, v7, 0
	v_cmp_ne_u32_e64 s0, 0, v7
	buffer_gl0_inv
	; wave barrier
	v_cmp_eq_u32_e32 vcc_lo, 0, v0
	s_and_b32 s1, s0, vcc_lo
	s_delay_alu instid0(SALU_CYCLE_1)
	s_and_saveexec_b32 s0, s1
	s_cbranch_execz .LBB71_2
; %bb.1:
	v_bcnt_u32_b32 v7, v7, 0
	ds_store_b32 v6, v7 offset:32
.LBB71_2:
	s_or_b32 exec_lo, exec_lo, s0
	; wave barrier
	s_waitcnt lgkmcnt(0)
	s_barrier
	buffer_gl0_inv
	ds_load_b32 v7, v2 offset:32
	v_min_u32_e32 v5, 0xe0, v5
	s_mov_b32 s0, exec_lo
	s_delay_alu instid0(VALU_DEP_1) | instskip(SKIP_3) | instid1(VALU_DEP_1)
	v_or_b32_e32 v10, 31, v5
	s_waitcnt lgkmcnt(0)
	v_mov_b32_dpp v9, v7 row_shr:1 row_mask:0xf bank_mask:0xf
	v_and_b32_e32 v8, 15, v4
	v_cmp_ne_u32_e32 vcc_lo, 0, v8
	s_delay_alu instid0(VALU_DEP_3) | instskip(SKIP_1) | instid1(VALU_DEP_2)
	v_cndmask_b32_e32 v9, 0, v9, vcc_lo
	v_cmp_lt_u32_e32 vcc_lo, 1, v8
	v_add_nc_u32_e32 v7, v9, v7
	s_delay_alu instid0(VALU_DEP_1) | instskip(NEXT) | instid1(VALU_DEP_1)
	v_mov_b32_dpp v9, v7 row_shr:2 row_mask:0xf bank_mask:0xf
	v_cndmask_b32_e32 v9, 0, v9, vcc_lo
	v_cmp_lt_u32_e32 vcc_lo, 3, v8
	s_delay_alu instid0(VALU_DEP_2) | instskip(NEXT) | instid1(VALU_DEP_1)
	v_add_nc_u32_e32 v7, v7, v9
	v_mov_b32_dpp v9, v7 row_shr:4 row_mask:0xf bank_mask:0xf
	s_delay_alu instid0(VALU_DEP_1) | instskip(SKIP_1) | instid1(VALU_DEP_2)
	v_cndmask_b32_e32 v9, 0, v9, vcc_lo
	v_cmp_lt_u32_e32 vcc_lo, 7, v8
	v_add_nc_u32_e32 v7, v7, v9
	s_delay_alu instid0(VALU_DEP_1) | instskip(NEXT) | instid1(VALU_DEP_1)
	v_mov_b32_dpp v9, v7 row_shr:8 row_mask:0xf bank_mask:0xf
	v_cndmask_b32_e32 v8, 0, v9, vcc_lo
	v_bfe_i32 v9, v4, 4, 1
	s_delay_alu instid0(VALU_DEP_2) | instskip(SKIP_4) | instid1(VALU_DEP_2)
	v_add_nc_u32_e32 v8, v7, v8
	ds_swizzle_b32 v7, v8 offset:swizzle(BROADCAST,32,15)
	s_waitcnt lgkmcnt(0)
	v_and_b32_e32 v9, v9, v7
	v_lshrrev_b32_e32 v7, 5, v1
	v_add_nc_u32_e32 v5, v8, v9
	v_cmpx_eq_u32_e64 v10, v1
	s_cbranch_execz .LBB71_4
; %bb.3:
	s_delay_alu instid0(VALU_DEP_3)
	v_lshlrev_b32_e32 v8, 2, v7
	ds_store_b32 v8, v5
.LBB71_4:
	s_or_b32 exec_lo, exec_lo, s0
	s_delay_alu instid0(SALU_CYCLE_1)
	s_mov_b32 s0, exec_lo
	s_waitcnt lgkmcnt(0)
	s_barrier
	buffer_gl0_inv
	v_cmpx_gt_u32_e32 8, v1
	s_cbranch_execz .LBB71_6
; %bb.5:
	ds_load_b32 v8, v2
	s_waitcnt lgkmcnt(0)
	v_mov_b32_dpp v10, v8 row_shr:1 row_mask:0xf bank_mask:0xf
	v_and_b32_e32 v9, 7, v4
	s_delay_alu instid0(VALU_DEP_1) | instskip(NEXT) | instid1(VALU_DEP_3)
	v_cmp_ne_u32_e32 vcc_lo, 0, v9
	v_cndmask_b32_e32 v10, 0, v10, vcc_lo
	v_cmp_lt_u32_e32 vcc_lo, 1, v9
	s_delay_alu instid0(VALU_DEP_2) | instskip(NEXT) | instid1(VALU_DEP_1)
	v_add_nc_u32_e32 v8, v10, v8
	v_mov_b32_dpp v10, v8 row_shr:2 row_mask:0xf bank_mask:0xf
	s_delay_alu instid0(VALU_DEP_1) | instskip(SKIP_1) | instid1(VALU_DEP_2)
	v_cndmask_b32_e32 v10, 0, v10, vcc_lo
	v_cmp_lt_u32_e32 vcc_lo, 3, v9
	v_add_nc_u32_e32 v8, v8, v10
	s_delay_alu instid0(VALU_DEP_1) | instskip(NEXT) | instid1(VALU_DEP_1)
	v_mov_b32_dpp v10, v8 row_shr:4 row_mask:0xf bank_mask:0xf
	v_cndmask_b32_e32 v9, 0, v10, vcc_lo
	s_delay_alu instid0(VALU_DEP_1)
	v_add_nc_u32_e32 v8, v8, v9
	ds_store_b32 v2, v8
.LBB71_6:
	s_or_b32 exec_lo, exec_lo, s0
	v_cmp_lt_u32_e32 vcc_lo, 31, v1
	v_mov_b32_e32 v1, 0
	s_waitcnt lgkmcnt(0)
	s_barrier
	buffer_gl0_inv
	s_and_saveexec_b32 s0, vcc_lo
	s_cbranch_execz .LBB71_8
; %bb.7:
	v_lshl_add_u32 v1, v7, 2, -4
	ds_load_b32 v1, v1
.LBB71_8:
	s_or_b32 exec_lo, exec_lo, s0
	v_add_nc_u32_e32 v7, -1, v4
	s_waitcnt lgkmcnt(0)
	v_add_nc_u32_e32 v5, v1, v5
	s_add_u32 s0, s6, s2
	s_addc_u32 s1, s7, s3
	v_cmp_gt_i32_e32 vcc_lo, 0, v7
	v_cndmask_b32_e32 v7, v7, v4, vcc_lo
	v_cmp_eq_u32_e32 vcc_lo, 0, v4
	s_delay_alu instid0(VALU_DEP_2)
	v_lshlrev_b32_e32 v7, 2, v7
	ds_bpermute_b32 v5, v7, v5
	s_waitcnt lgkmcnt(0)
	v_cndmask_b32_e32 v1, v5, v1, vcc_lo
	ds_store_b32 v2, v1 offset:32
	s_waitcnt lgkmcnt(0)
	s_barrier
	buffer_gl0_inv
	ds_load_b32 v1, v6 offset:32
	s_waitcnt lgkmcnt(0)
	s_barrier
	buffer_gl0_inv
	v_add_nc_u32_e32 v0, v1, v0
	ds_store_b32 v3, v0
	; wave barrier
	ds_load_b32 v0, v3
	s_waitcnt lgkmcnt(0)
	global_store_b32 v2, v0, s[0:1]
	s_nop 0
	s_sendmsg sendmsg(MSG_DEALLOC_VGPRS)
	s_endpgm
	.section	.rodata,"a",@progbits
	.p2align	6, 0x0
	.amdhsa_kernel _Z11rank_kernelILj256ELj1ELj4ELb0EL18RadixRankAlgorithm2EfEvPKT4_Pijj
		.amdhsa_group_segment_fixed_size 1056
		.amdhsa_private_segment_fixed_size 0
		.amdhsa_kernarg_size 280
		.amdhsa_user_sgpr_count 15
		.amdhsa_user_sgpr_dispatch_ptr 0
		.amdhsa_user_sgpr_queue_ptr 0
		.amdhsa_user_sgpr_kernarg_segment_ptr 1
		.amdhsa_user_sgpr_dispatch_id 0
		.amdhsa_user_sgpr_private_segment_size 0
		.amdhsa_wavefront_size32 1
		.amdhsa_uses_dynamic_stack 0
		.amdhsa_enable_private_segment 0
		.amdhsa_system_sgpr_workgroup_id_x 1
		.amdhsa_system_sgpr_workgroup_id_y 0
		.amdhsa_system_sgpr_workgroup_id_z 0
		.amdhsa_system_sgpr_workgroup_info 0
		.amdhsa_system_vgpr_workitem_id 2
		.amdhsa_next_free_vgpr 13
		.amdhsa_next_free_sgpr 16
		.amdhsa_reserve_vcc 1
		.amdhsa_float_round_mode_32 0
		.amdhsa_float_round_mode_16_64 0
		.amdhsa_float_denorm_mode_32 3
		.amdhsa_float_denorm_mode_16_64 3
		.amdhsa_dx10_clamp 1
		.amdhsa_ieee_mode 1
		.amdhsa_fp16_overflow 0
		.amdhsa_workgroup_processor_mode 1
		.amdhsa_memory_ordered 1
		.amdhsa_forward_progress 0
		.amdhsa_shared_vgpr_count 0
		.amdhsa_exception_fp_ieee_invalid_op 0
		.amdhsa_exception_fp_denorm_src 0
		.amdhsa_exception_fp_ieee_div_zero 0
		.amdhsa_exception_fp_ieee_overflow 0
		.amdhsa_exception_fp_ieee_underflow 0
		.amdhsa_exception_fp_ieee_inexact 0
		.amdhsa_exception_int_div_zero 0
	.end_amdhsa_kernel
	.section	.text._Z11rank_kernelILj256ELj1ELj4ELb0EL18RadixRankAlgorithm2EfEvPKT4_Pijj,"axG",@progbits,_Z11rank_kernelILj256ELj1ELj4ELb0EL18RadixRankAlgorithm2EfEvPKT4_Pijj,comdat
.Lfunc_end71:
	.size	_Z11rank_kernelILj256ELj1ELj4ELb0EL18RadixRankAlgorithm2EfEvPKT4_Pijj, .Lfunc_end71-_Z11rank_kernelILj256ELj1ELj4ELb0EL18RadixRankAlgorithm2EfEvPKT4_Pijj
                                        ; -- End function
	.section	.AMDGPU.csdata,"",@progbits
; Kernel info:
; codeLenInByte = 1080
; NumSgprs: 18
; NumVgprs: 13
; ScratchSize: 0
; MemoryBound: 0
; FloatMode: 240
; IeeeMode: 1
; LDSByteSize: 1056 bytes/workgroup (compile time only)
; SGPRBlocks: 2
; VGPRBlocks: 1
; NumSGPRsForWavesPerEU: 18
; NumVGPRsForWavesPerEU: 13
; Occupancy: 16
; WaveLimiterHint : 0
; COMPUTE_PGM_RSRC2:SCRATCH_EN: 0
; COMPUTE_PGM_RSRC2:USER_SGPR: 15
; COMPUTE_PGM_RSRC2:TRAP_HANDLER: 0
; COMPUTE_PGM_RSRC2:TGID_X_EN: 1
; COMPUTE_PGM_RSRC2:TGID_Y_EN: 0
; COMPUTE_PGM_RSRC2:TGID_Z_EN: 0
; COMPUTE_PGM_RSRC2:TIDIG_COMP_CNT: 2
	.section	.text._Z11rank_kernelILj128ELj1ELj4ELb0EL18RadixRankAlgorithm2E12hip_bfloat16EvPKT4_Pijj,"axG",@progbits,_Z11rank_kernelILj128ELj1ELj4ELb0EL18RadixRankAlgorithm2E12hip_bfloat16EvPKT4_Pijj,comdat
	.protected	_Z11rank_kernelILj128ELj1ELj4ELb0EL18RadixRankAlgorithm2E12hip_bfloat16EvPKT4_Pijj ; -- Begin function _Z11rank_kernelILj128ELj1ELj4ELb0EL18RadixRankAlgorithm2E12hip_bfloat16EvPKT4_Pijj
	.globl	_Z11rank_kernelILj128ELj1ELj4ELb0EL18RadixRankAlgorithm2E12hip_bfloat16EvPKT4_Pijj
	.p2align	8
	.type	_Z11rank_kernelILj128ELj1ELj4ELb0EL18RadixRankAlgorithm2E12hip_bfloat16EvPKT4_Pijj,@function
_Z11rank_kernelILj128ELj1ELj4ELb0EL18RadixRankAlgorithm2E12hip_bfloat16EvPKT4_Pijj: ; @_Z11rank_kernelILj128ELj1ELj4ELb0EL18RadixRankAlgorithm2E12hip_bfloat16EvPKT4_Pijj
; %bb.0:
	s_clause 0x1
	s_load_b128 s[4:7], s[0:1], 0x0
	s_load_b64 s[10:11], s[0:1], 0x10
	v_and_b32_e32 v1, 0x3ff, v0
	s_mov_b32 s3, 0
	s_lshl_b32 s2, s15, 7
	v_mbcnt_lo_u32_b32 v3, -1, 0
	s_lshl_b64 s[8:9], s[2:3], 1
	v_lshlrev_b32_e32 v2, 1, v1
	v_and_b32_e32 v4, 0x60, v1
	s_load_b32 s0, s[0:1], 0x24
	v_bfe_u32 v9, v0, 10, 10
	v_bfe_u32 v0, v0, 20, 10
	s_waitcnt lgkmcnt(0)
	s_add_u32 s4, s4, s8
	s_addc_u32 s5, s5, s9
	s_and_b32 s1, s11, 31
	global_load_u16 v5, v2, s[4:5]
	v_or_b32_e32 v2, v3, v4
	s_and_b32 s4, s10, 31
	s_delay_alu instid0(SALU_CYCLE_1) | instskip(NEXT) | instid1(VALU_DEP_1)
	s_add_i32 s4, s4, s1
	v_lshlrev_b32_e32 v6, 1, v2
	s_sub_i32 s4, 32, s4
	s_lshr_b32 s5, s0, 16
	s_delay_alu instid0(SALU_CYCLE_1)
	v_mad_u32_u24 v0, v0, s5, v9
	s_waitcnt vmcnt(0)
	ds_store_b16 v6, v5
	; wave barrier
	ds_load_u16 v5, v6
	s_waitcnt lgkmcnt(0)
	s_barrier
	buffer_gl0_inv
	v_cmp_lt_i16_e32 vcc_lo, -1, v5
	v_cndmask_b32_e64 v6, -1, 0xffff8000, vcc_lo
	s_delay_alu instid0(VALU_DEP_1) | instskip(NEXT) | instid1(VALU_DEP_1)
	v_xor_b32_e32 v5, v6, v5
	v_cmp_ne_u16_e32 vcc_lo, 0x7fff, v5
	v_cndmask_b32_e32 v5, 0xffff8000, v5, vcc_lo
	s_delay_alu instid0(VALU_DEP_1) | instskip(NEXT) | instid1(VALU_DEP_1)
	v_and_b32_e32 v5, 0xffff, v5
	v_lshlrev_b32_e32 v5, s4, v5
	s_sub_i32 s4, 32, s1
	s_delay_alu instid0(VALU_DEP_1) | instid1(SALU_CYCLE_1)
	v_bfe_u32 v5, v5, s4, 16
	s_and_b32 s4, s0, 0xffff
	s_cmp_lg_u32 s1, 0
	s_cselect_b32 vcc_lo, -1, 0
	s_delay_alu instid0(VALU_DEP_1) | instskip(NEXT) | instid1(VALU_DEP_1)
	v_cndmask_b32_e32 v8, 0, v5, vcc_lo
	v_and_b32_e32 v5, 1, v8
	v_lshlrev_b32_e32 v6, 30, v8
	v_lshlrev_b32_e32 v10, 29, v8
	s_delay_alu instid0(VALU_DEP_3) | instskip(NEXT) | instid1(VALU_DEP_1)
	v_add_co_u32 v5, s0, v5, -1
	v_cndmask_b32_e64 v7, 0, 1, s0
	s_delay_alu instid0(VALU_DEP_4) | instskip(SKIP_2) | instid1(VALU_DEP_4)
	v_not_b32_e32 v11, v6
	v_cmp_gt_i32_e64 s0, 0, v6
	v_not_b32_e32 v6, v10
	v_cmp_ne_u32_e32 vcc_lo, 0, v7
	v_lshlrev_b32_e32 v7, 28, v8
	v_ashrrev_i32_e32 v11, 31, v11
	s_delay_alu instid0(VALU_DEP_4)
	v_ashrrev_i32_e32 v6, 31, v6
	v_mul_u32_u24_e32 v8, 5, v8
	v_xor_b32_e32 v5, vcc_lo, v5
	v_cmp_gt_i32_e32 vcc_lo, 0, v10
	v_not_b32_e32 v10, v7
	v_xor_b32_e32 v11, s0, v11
	v_cmp_gt_i32_e64 s0, 0, v7
	v_and_b32_e32 v5, exec_lo, v5
	v_xor_b32_e32 v9, vcc_lo, v6
	v_ashrrev_i32_e32 v7, 31, v10
	s_delay_alu instid0(VALU_DEP_3) | instskip(SKIP_1) | instid1(VALU_DEP_3)
	v_and_b32_e32 v10, v5, v11
	v_mad_u64_u32 v[5:6], null, v0, s4, v[1:2]
	v_xor_b32_e32 v0, s0, v7
	s_delay_alu instid0(VALU_DEP_3) | instskip(NEXT) | instid1(VALU_DEP_1)
	v_dual_mov_b32 v9, 0 :: v_dual_and_b32 v6, v10, v9
	v_and_b32_e32 v7, v6, v0
	s_delay_alu instid0(VALU_DEP_4) | instskip(SKIP_1) | instid1(VALU_DEP_3)
	v_lshrrev_b32_e32 v6, 5, v5
	v_lshlrev_b32_e32 v0, 2, v1
	v_mbcnt_lo_u32_b32 v5, v7, 0
	v_cmp_ne_u32_e64 s0, 0, v7
	s_delay_alu instid0(VALU_DEP_4)
	v_add_lshl_u32 v6, v8, v6, 2
	ds_store_b32 v0, v9 offset:16
	s_waitcnt lgkmcnt(0)
	v_cmp_eq_u32_e32 vcc_lo, 0, v5
	s_barrier
	buffer_gl0_inv
	; wave barrier
	s_and_b32 s1, s0, vcc_lo
	s_delay_alu instid0(SALU_CYCLE_1)
	s_and_saveexec_b32 s0, s1
	s_cbranch_execz .LBB72_2
; %bb.1:
	v_bcnt_u32_b32 v7, v7, 0
	ds_store_b32 v6, v7 offset:16
.LBB72_2:
	s_or_b32 exec_lo, exec_lo, s0
	; wave barrier
	s_waitcnt lgkmcnt(0)
	s_barrier
	buffer_gl0_inv
	ds_load_b32 v7, v0 offset:16
	v_min_u32_e32 v4, 0x60, v4
	s_mov_b32 s0, exec_lo
	s_delay_alu instid0(VALU_DEP_1) | instskip(SKIP_3) | instid1(VALU_DEP_1)
	v_or_b32_e32 v10, 31, v4
	s_waitcnt lgkmcnt(0)
	v_mov_b32_dpp v9, v7 row_shr:1 row_mask:0xf bank_mask:0xf
	v_and_b32_e32 v8, 15, v3
	v_cmp_ne_u32_e32 vcc_lo, 0, v8
	s_delay_alu instid0(VALU_DEP_3) | instskip(SKIP_1) | instid1(VALU_DEP_2)
	v_cndmask_b32_e32 v9, 0, v9, vcc_lo
	v_cmp_lt_u32_e32 vcc_lo, 1, v8
	v_add_nc_u32_e32 v7, v9, v7
	s_delay_alu instid0(VALU_DEP_1) | instskip(NEXT) | instid1(VALU_DEP_1)
	v_mov_b32_dpp v9, v7 row_shr:2 row_mask:0xf bank_mask:0xf
	v_cndmask_b32_e32 v9, 0, v9, vcc_lo
	v_cmp_lt_u32_e32 vcc_lo, 3, v8
	s_delay_alu instid0(VALU_DEP_2) | instskip(NEXT) | instid1(VALU_DEP_1)
	v_add_nc_u32_e32 v7, v7, v9
	v_mov_b32_dpp v9, v7 row_shr:4 row_mask:0xf bank_mask:0xf
	s_delay_alu instid0(VALU_DEP_1) | instskip(SKIP_1) | instid1(VALU_DEP_2)
	v_cndmask_b32_e32 v9, 0, v9, vcc_lo
	v_cmp_lt_u32_e32 vcc_lo, 7, v8
	v_add_nc_u32_e32 v7, v7, v9
	s_delay_alu instid0(VALU_DEP_1) | instskip(NEXT) | instid1(VALU_DEP_1)
	v_mov_b32_dpp v9, v7 row_shr:8 row_mask:0xf bank_mask:0xf
	v_cndmask_b32_e32 v8, 0, v9, vcc_lo
	v_bfe_i32 v9, v3, 4, 1
	s_delay_alu instid0(VALU_DEP_2) | instskip(SKIP_4) | instid1(VALU_DEP_2)
	v_add_nc_u32_e32 v8, v7, v8
	ds_swizzle_b32 v7, v8 offset:swizzle(BROADCAST,32,15)
	s_waitcnt lgkmcnt(0)
	v_and_b32_e32 v9, v9, v7
	v_lshrrev_b32_e32 v7, 5, v1
	v_add_nc_u32_e32 v4, v8, v9
	v_cmpx_eq_u32_e64 v10, v1
	s_cbranch_execz .LBB72_4
; %bb.3:
	s_delay_alu instid0(VALU_DEP_3)
	v_lshlrev_b32_e32 v8, 2, v7
	ds_store_b32 v8, v4
.LBB72_4:
	s_or_b32 exec_lo, exec_lo, s0
	s_delay_alu instid0(SALU_CYCLE_1)
	s_mov_b32 s0, exec_lo
	s_waitcnt lgkmcnt(0)
	s_barrier
	buffer_gl0_inv
	v_cmpx_gt_u32_e32 4, v1
	s_cbranch_execz .LBB72_6
; %bb.5:
	ds_load_b32 v8, v0
	s_waitcnt lgkmcnt(0)
	v_mov_b32_dpp v10, v8 row_shr:1 row_mask:0xf bank_mask:0xf
	v_and_b32_e32 v9, 3, v3
	s_delay_alu instid0(VALU_DEP_1) | instskip(NEXT) | instid1(VALU_DEP_3)
	v_cmp_ne_u32_e32 vcc_lo, 0, v9
	v_cndmask_b32_e32 v10, 0, v10, vcc_lo
	v_cmp_lt_u32_e32 vcc_lo, 1, v9
	s_delay_alu instid0(VALU_DEP_2) | instskip(NEXT) | instid1(VALU_DEP_1)
	v_add_nc_u32_e32 v8, v10, v8
	v_mov_b32_dpp v10, v8 row_shr:2 row_mask:0xf bank_mask:0xf
	s_delay_alu instid0(VALU_DEP_1) | instskip(NEXT) | instid1(VALU_DEP_1)
	v_cndmask_b32_e32 v9, 0, v10, vcc_lo
	v_add_nc_u32_e32 v8, v8, v9
	ds_store_b32 v0, v8
.LBB72_6:
	s_or_b32 exec_lo, exec_lo, s0
	v_cmp_lt_u32_e32 vcc_lo, 31, v1
	v_mov_b32_e32 v1, 0
	s_waitcnt lgkmcnt(0)
	s_barrier
	buffer_gl0_inv
	s_and_saveexec_b32 s0, vcc_lo
	s_cbranch_execz .LBB72_8
; %bb.7:
	v_lshl_add_u32 v1, v7, 2, -4
	ds_load_b32 v1, v1
.LBB72_8:
	s_or_b32 exec_lo, exec_lo, s0
	v_add_nc_u32_e32 v7, -1, v3
	s_lshl_b64 s[0:1], s[2:3], 2
	s_waitcnt lgkmcnt(0)
	v_add_nc_u32_e32 v4, v1, v4
	s_add_u32 s0, s6, s0
	s_addc_u32 s1, s7, s1
	v_cmp_gt_i32_e32 vcc_lo, 0, v7
	v_dual_cndmask_b32 v7, v7, v3 :: v_dual_lshlrev_b32 v2, 2, v2
	v_cmp_eq_u32_e32 vcc_lo, 0, v3
	s_delay_alu instid0(VALU_DEP_2)
	v_lshlrev_b32_e32 v7, 2, v7
	ds_bpermute_b32 v4, v7, v4
	s_waitcnt lgkmcnt(0)
	v_cndmask_b32_e32 v1, v4, v1, vcc_lo
	ds_store_b32 v0, v1 offset:16
	s_waitcnt lgkmcnt(0)
	s_barrier
	buffer_gl0_inv
	ds_load_b32 v1, v6 offset:16
	s_waitcnt lgkmcnt(0)
	s_barrier
	buffer_gl0_inv
	v_add_nc_u32_e32 v1, v1, v5
	ds_store_b32 v2, v1
	; wave barrier
	ds_load_b32 v1, v2
	s_waitcnt lgkmcnt(0)
	global_store_b32 v0, v1, s[0:1]
	s_nop 0
	s_sendmsg sendmsg(MSG_DEALLOC_VGPRS)
	s_endpgm
	.section	.rodata,"a",@progbits
	.p2align	6, 0x0
	.amdhsa_kernel _Z11rank_kernelILj128ELj1ELj4ELb0EL18RadixRankAlgorithm2E12hip_bfloat16EvPKT4_Pijj
		.amdhsa_group_segment_fixed_size 528
		.amdhsa_private_segment_fixed_size 0
		.amdhsa_kernarg_size 280
		.amdhsa_user_sgpr_count 15
		.amdhsa_user_sgpr_dispatch_ptr 0
		.amdhsa_user_sgpr_queue_ptr 0
		.amdhsa_user_sgpr_kernarg_segment_ptr 1
		.amdhsa_user_sgpr_dispatch_id 0
		.amdhsa_user_sgpr_private_segment_size 0
		.amdhsa_wavefront_size32 1
		.amdhsa_uses_dynamic_stack 0
		.amdhsa_enable_private_segment 0
		.amdhsa_system_sgpr_workgroup_id_x 1
		.amdhsa_system_sgpr_workgroup_id_y 0
		.amdhsa_system_sgpr_workgroup_id_z 0
		.amdhsa_system_sgpr_workgroup_info 0
		.amdhsa_system_vgpr_workitem_id 2
		.amdhsa_next_free_vgpr 12
		.amdhsa_next_free_sgpr 16
		.amdhsa_reserve_vcc 1
		.amdhsa_float_round_mode_32 0
		.amdhsa_float_round_mode_16_64 0
		.amdhsa_float_denorm_mode_32 3
		.amdhsa_float_denorm_mode_16_64 3
		.amdhsa_dx10_clamp 1
		.amdhsa_ieee_mode 1
		.amdhsa_fp16_overflow 0
		.amdhsa_workgroup_processor_mode 1
		.amdhsa_memory_ordered 1
		.amdhsa_forward_progress 0
		.amdhsa_shared_vgpr_count 0
		.amdhsa_exception_fp_ieee_invalid_op 0
		.amdhsa_exception_fp_denorm_src 0
		.amdhsa_exception_fp_ieee_div_zero 0
		.amdhsa_exception_fp_ieee_overflow 0
		.amdhsa_exception_fp_ieee_underflow 0
		.amdhsa_exception_fp_ieee_inexact 0
		.amdhsa_exception_int_div_zero 0
	.end_amdhsa_kernel
	.section	.text._Z11rank_kernelILj128ELj1ELj4ELb0EL18RadixRankAlgorithm2E12hip_bfloat16EvPKT4_Pijj,"axG",@progbits,_Z11rank_kernelILj128ELj1ELj4ELb0EL18RadixRankAlgorithm2E12hip_bfloat16EvPKT4_Pijj,comdat
.Lfunc_end72:
	.size	_Z11rank_kernelILj128ELj1ELj4ELb0EL18RadixRankAlgorithm2E12hip_bfloat16EvPKT4_Pijj, .Lfunc_end72-_Z11rank_kernelILj128ELj1ELj4ELb0EL18RadixRankAlgorithm2E12hip_bfloat16EvPKT4_Pijj
                                        ; -- End function
	.section	.AMDGPU.csdata,"",@progbits
; Kernel info:
; codeLenInByte = 1072
; NumSgprs: 18
; NumVgprs: 12
; ScratchSize: 0
; MemoryBound: 0
; FloatMode: 240
; IeeeMode: 1
; LDSByteSize: 528 bytes/workgroup (compile time only)
; SGPRBlocks: 2
; VGPRBlocks: 1
; NumSGPRsForWavesPerEU: 18
; NumVGPRsForWavesPerEU: 12
; Occupancy: 16
; WaveLimiterHint : 0
; COMPUTE_PGM_RSRC2:SCRATCH_EN: 0
; COMPUTE_PGM_RSRC2:USER_SGPR: 15
; COMPUTE_PGM_RSRC2:TRAP_HANDLER: 0
; COMPUTE_PGM_RSRC2:TGID_X_EN: 1
; COMPUTE_PGM_RSRC2:TGID_Y_EN: 0
; COMPUTE_PGM_RSRC2:TGID_Z_EN: 0
; COMPUTE_PGM_RSRC2:TIDIG_COMP_CNT: 2
	.section	.text._Z11rank_kernelILj128ELj1ELj4ELb0EL18RadixRankAlgorithm2E6__halfEvPKT4_Pijj,"axG",@progbits,_Z11rank_kernelILj128ELj1ELj4ELb0EL18RadixRankAlgorithm2E6__halfEvPKT4_Pijj,comdat
	.protected	_Z11rank_kernelILj128ELj1ELj4ELb0EL18RadixRankAlgorithm2E6__halfEvPKT4_Pijj ; -- Begin function _Z11rank_kernelILj128ELj1ELj4ELb0EL18RadixRankAlgorithm2E6__halfEvPKT4_Pijj
	.globl	_Z11rank_kernelILj128ELj1ELj4ELb0EL18RadixRankAlgorithm2E6__halfEvPKT4_Pijj
	.p2align	8
	.type	_Z11rank_kernelILj128ELj1ELj4ELb0EL18RadixRankAlgorithm2E6__halfEvPKT4_Pijj,@function
_Z11rank_kernelILj128ELj1ELj4ELb0EL18RadixRankAlgorithm2E6__halfEvPKT4_Pijj: ; @_Z11rank_kernelILj128ELj1ELj4ELb0EL18RadixRankAlgorithm2E6__halfEvPKT4_Pijj
; %bb.0:
	s_clause 0x1
	s_load_b128 s[4:7], s[0:1], 0x0
	s_load_b64 s[10:11], s[0:1], 0x10
	v_and_b32_e32 v1, 0x3ff, v0
	s_mov_b32 s3, 0
	s_lshl_b32 s2, s15, 7
	v_mbcnt_lo_u32_b32 v3, -1, 0
	s_lshl_b64 s[8:9], s[2:3], 1
	v_lshlrev_b32_e32 v2, 1, v1
	v_and_b32_e32 v4, 0x60, v1
	s_load_b32 s0, s[0:1], 0x24
	v_bfe_u32 v9, v0, 10, 10
	v_bfe_u32 v0, v0, 20, 10
	s_waitcnt lgkmcnt(0)
	s_add_u32 s4, s4, s8
	s_addc_u32 s5, s5, s9
	s_and_b32 s1, s11, 31
	global_load_u16 v5, v2, s[4:5]
	v_or_b32_e32 v2, v3, v4
	s_and_b32 s4, s10, 31
	s_delay_alu instid0(SALU_CYCLE_1) | instskip(NEXT) | instid1(VALU_DEP_1)
	s_add_i32 s4, s4, s1
	v_lshlrev_b32_e32 v6, 1, v2
	s_sub_i32 s4, 32, s4
	s_lshr_b32 s5, s0, 16
	s_delay_alu instid0(SALU_CYCLE_1)
	v_mad_u32_u24 v0, v0, s5, v9
	s_waitcnt vmcnt(0)
	ds_store_b16 v6, v5
	; wave barrier
	ds_load_u16 v5, v6
	s_waitcnt lgkmcnt(0)
	s_barrier
	buffer_gl0_inv
	v_cmp_lt_i16_e32 vcc_lo, -1, v5
	v_cndmask_b32_e64 v6, -1, 0xffff8000, vcc_lo
	s_delay_alu instid0(VALU_DEP_1) | instskip(NEXT) | instid1(VALU_DEP_1)
	v_xor_b32_e32 v5, v6, v5
	v_cmp_ne_u16_e32 vcc_lo, 0x7fff, v5
	v_cndmask_b32_e32 v5, 0xffff8000, v5, vcc_lo
	s_delay_alu instid0(VALU_DEP_1) | instskip(NEXT) | instid1(VALU_DEP_1)
	v_and_b32_e32 v5, 0xffff, v5
	v_lshlrev_b32_e32 v5, s4, v5
	s_sub_i32 s4, 32, s1
	s_delay_alu instid0(VALU_DEP_1) | instid1(SALU_CYCLE_1)
	v_bfe_u32 v5, v5, s4, 16
	s_and_b32 s4, s0, 0xffff
	s_cmp_lg_u32 s1, 0
	s_cselect_b32 vcc_lo, -1, 0
	s_delay_alu instid0(VALU_DEP_1) | instskip(NEXT) | instid1(VALU_DEP_1)
	v_cndmask_b32_e32 v8, 0, v5, vcc_lo
	v_and_b32_e32 v5, 1, v8
	v_lshlrev_b32_e32 v6, 30, v8
	v_lshlrev_b32_e32 v10, 29, v8
	s_delay_alu instid0(VALU_DEP_3) | instskip(NEXT) | instid1(VALU_DEP_1)
	v_add_co_u32 v5, s0, v5, -1
	v_cndmask_b32_e64 v7, 0, 1, s0
	s_delay_alu instid0(VALU_DEP_4) | instskip(SKIP_2) | instid1(VALU_DEP_4)
	v_not_b32_e32 v11, v6
	v_cmp_gt_i32_e64 s0, 0, v6
	v_not_b32_e32 v6, v10
	v_cmp_ne_u32_e32 vcc_lo, 0, v7
	v_lshlrev_b32_e32 v7, 28, v8
	v_ashrrev_i32_e32 v11, 31, v11
	s_delay_alu instid0(VALU_DEP_4)
	v_ashrrev_i32_e32 v6, 31, v6
	v_mul_u32_u24_e32 v8, 5, v8
	v_xor_b32_e32 v5, vcc_lo, v5
	v_cmp_gt_i32_e32 vcc_lo, 0, v10
	v_not_b32_e32 v10, v7
	v_xor_b32_e32 v11, s0, v11
	v_cmp_gt_i32_e64 s0, 0, v7
	v_and_b32_e32 v5, exec_lo, v5
	v_xor_b32_e32 v9, vcc_lo, v6
	v_ashrrev_i32_e32 v7, 31, v10
	s_delay_alu instid0(VALU_DEP_3) | instskip(SKIP_1) | instid1(VALU_DEP_3)
	v_and_b32_e32 v10, v5, v11
	v_mad_u64_u32 v[5:6], null, v0, s4, v[1:2]
	v_xor_b32_e32 v0, s0, v7
	s_delay_alu instid0(VALU_DEP_3) | instskip(NEXT) | instid1(VALU_DEP_1)
	v_dual_mov_b32 v9, 0 :: v_dual_and_b32 v6, v10, v9
	v_and_b32_e32 v7, v6, v0
	s_delay_alu instid0(VALU_DEP_4) | instskip(SKIP_1) | instid1(VALU_DEP_3)
	v_lshrrev_b32_e32 v6, 5, v5
	v_lshlrev_b32_e32 v0, 2, v1
	v_mbcnt_lo_u32_b32 v5, v7, 0
	v_cmp_ne_u32_e64 s0, 0, v7
	s_delay_alu instid0(VALU_DEP_4)
	v_add_lshl_u32 v6, v8, v6, 2
	ds_store_b32 v0, v9 offset:16
	s_waitcnt lgkmcnt(0)
	v_cmp_eq_u32_e32 vcc_lo, 0, v5
	s_barrier
	buffer_gl0_inv
	; wave barrier
	s_and_b32 s1, s0, vcc_lo
	s_delay_alu instid0(SALU_CYCLE_1)
	s_and_saveexec_b32 s0, s1
	s_cbranch_execz .LBB73_2
; %bb.1:
	v_bcnt_u32_b32 v7, v7, 0
	ds_store_b32 v6, v7 offset:16
.LBB73_2:
	s_or_b32 exec_lo, exec_lo, s0
	; wave barrier
	s_waitcnt lgkmcnt(0)
	s_barrier
	buffer_gl0_inv
	ds_load_b32 v7, v0 offset:16
	v_min_u32_e32 v4, 0x60, v4
	s_mov_b32 s0, exec_lo
	s_delay_alu instid0(VALU_DEP_1) | instskip(SKIP_3) | instid1(VALU_DEP_1)
	v_or_b32_e32 v10, 31, v4
	s_waitcnt lgkmcnt(0)
	v_mov_b32_dpp v9, v7 row_shr:1 row_mask:0xf bank_mask:0xf
	v_and_b32_e32 v8, 15, v3
	v_cmp_ne_u32_e32 vcc_lo, 0, v8
	s_delay_alu instid0(VALU_DEP_3) | instskip(SKIP_1) | instid1(VALU_DEP_2)
	v_cndmask_b32_e32 v9, 0, v9, vcc_lo
	v_cmp_lt_u32_e32 vcc_lo, 1, v8
	v_add_nc_u32_e32 v7, v9, v7
	s_delay_alu instid0(VALU_DEP_1) | instskip(NEXT) | instid1(VALU_DEP_1)
	v_mov_b32_dpp v9, v7 row_shr:2 row_mask:0xf bank_mask:0xf
	v_cndmask_b32_e32 v9, 0, v9, vcc_lo
	v_cmp_lt_u32_e32 vcc_lo, 3, v8
	s_delay_alu instid0(VALU_DEP_2) | instskip(NEXT) | instid1(VALU_DEP_1)
	v_add_nc_u32_e32 v7, v7, v9
	v_mov_b32_dpp v9, v7 row_shr:4 row_mask:0xf bank_mask:0xf
	s_delay_alu instid0(VALU_DEP_1) | instskip(SKIP_1) | instid1(VALU_DEP_2)
	v_cndmask_b32_e32 v9, 0, v9, vcc_lo
	v_cmp_lt_u32_e32 vcc_lo, 7, v8
	v_add_nc_u32_e32 v7, v7, v9
	s_delay_alu instid0(VALU_DEP_1) | instskip(NEXT) | instid1(VALU_DEP_1)
	v_mov_b32_dpp v9, v7 row_shr:8 row_mask:0xf bank_mask:0xf
	v_cndmask_b32_e32 v8, 0, v9, vcc_lo
	v_bfe_i32 v9, v3, 4, 1
	s_delay_alu instid0(VALU_DEP_2) | instskip(SKIP_4) | instid1(VALU_DEP_2)
	v_add_nc_u32_e32 v8, v7, v8
	ds_swizzle_b32 v7, v8 offset:swizzle(BROADCAST,32,15)
	s_waitcnt lgkmcnt(0)
	v_and_b32_e32 v9, v9, v7
	v_lshrrev_b32_e32 v7, 5, v1
	v_add_nc_u32_e32 v4, v8, v9
	v_cmpx_eq_u32_e64 v10, v1
	s_cbranch_execz .LBB73_4
; %bb.3:
	s_delay_alu instid0(VALU_DEP_3)
	v_lshlrev_b32_e32 v8, 2, v7
	ds_store_b32 v8, v4
.LBB73_4:
	s_or_b32 exec_lo, exec_lo, s0
	s_delay_alu instid0(SALU_CYCLE_1)
	s_mov_b32 s0, exec_lo
	s_waitcnt lgkmcnt(0)
	s_barrier
	buffer_gl0_inv
	v_cmpx_gt_u32_e32 4, v1
	s_cbranch_execz .LBB73_6
; %bb.5:
	ds_load_b32 v8, v0
	s_waitcnt lgkmcnt(0)
	v_mov_b32_dpp v10, v8 row_shr:1 row_mask:0xf bank_mask:0xf
	v_and_b32_e32 v9, 3, v3
	s_delay_alu instid0(VALU_DEP_1) | instskip(NEXT) | instid1(VALU_DEP_3)
	v_cmp_ne_u32_e32 vcc_lo, 0, v9
	v_cndmask_b32_e32 v10, 0, v10, vcc_lo
	v_cmp_lt_u32_e32 vcc_lo, 1, v9
	s_delay_alu instid0(VALU_DEP_2) | instskip(NEXT) | instid1(VALU_DEP_1)
	v_add_nc_u32_e32 v8, v10, v8
	v_mov_b32_dpp v10, v8 row_shr:2 row_mask:0xf bank_mask:0xf
	s_delay_alu instid0(VALU_DEP_1) | instskip(NEXT) | instid1(VALU_DEP_1)
	v_cndmask_b32_e32 v9, 0, v10, vcc_lo
	v_add_nc_u32_e32 v8, v8, v9
	ds_store_b32 v0, v8
.LBB73_6:
	s_or_b32 exec_lo, exec_lo, s0
	v_cmp_lt_u32_e32 vcc_lo, 31, v1
	v_mov_b32_e32 v1, 0
	s_waitcnt lgkmcnt(0)
	s_barrier
	buffer_gl0_inv
	s_and_saveexec_b32 s0, vcc_lo
	s_cbranch_execz .LBB73_8
; %bb.7:
	v_lshl_add_u32 v1, v7, 2, -4
	ds_load_b32 v1, v1
.LBB73_8:
	s_or_b32 exec_lo, exec_lo, s0
	v_add_nc_u32_e32 v7, -1, v3
	s_lshl_b64 s[0:1], s[2:3], 2
	s_waitcnt lgkmcnt(0)
	v_add_nc_u32_e32 v4, v1, v4
	s_add_u32 s0, s6, s0
	s_addc_u32 s1, s7, s1
	v_cmp_gt_i32_e32 vcc_lo, 0, v7
	v_dual_cndmask_b32 v7, v7, v3 :: v_dual_lshlrev_b32 v2, 2, v2
	v_cmp_eq_u32_e32 vcc_lo, 0, v3
	s_delay_alu instid0(VALU_DEP_2)
	v_lshlrev_b32_e32 v7, 2, v7
	ds_bpermute_b32 v4, v7, v4
	s_waitcnt lgkmcnt(0)
	v_cndmask_b32_e32 v1, v4, v1, vcc_lo
	ds_store_b32 v0, v1 offset:16
	s_waitcnt lgkmcnt(0)
	s_barrier
	buffer_gl0_inv
	ds_load_b32 v1, v6 offset:16
	s_waitcnt lgkmcnt(0)
	s_barrier
	buffer_gl0_inv
	v_add_nc_u32_e32 v1, v1, v5
	ds_store_b32 v2, v1
	; wave barrier
	ds_load_b32 v1, v2
	s_waitcnt lgkmcnt(0)
	global_store_b32 v0, v1, s[0:1]
	s_nop 0
	s_sendmsg sendmsg(MSG_DEALLOC_VGPRS)
	s_endpgm
	.section	.rodata,"a",@progbits
	.p2align	6, 0x0
	.amdhsa_kernel _Z11rank_kernelILj128ELj1ELj4ELb0EL18RadixRankAlgorithm2E6__halfEvPKT4_Pijj
		.amdhsa_group_segment_fixed_size 528
		.amdhsa_private_segment_fixed_size 0
		.amdhsa_kernarg_size 280
		.amdhsa_user_sgpr_count 15
		.amdhsa_user_sgpr_dispatch_ptr 0
		.amdhsa_user_sgpr_queue_ptr 0
		.amdhsa_user_sgpr_kernarg_segment_ptr 1
		.amdhsa_user_sgpr_dispatch_id 0
		.amdhsa_user_sgpr_private_segment_size 0
		.amdhsa_wavefront_size32 1
		.amdhsa_uses_dynamic_stack 0
		.amdhsa_enable_private_segment 0
		.amdhsa_system_sgpr_workgroup_id_x 1
		.amdhsa_system_sgpr_workgroup_id_y 0
		.amdhsa_system_sgpr_workgroup_id_z 0
		.amdhsa_system_sgpr_workgroup_info 0
		.amdhsa_system_vgpr_workitem_id 2
		.amdhsa_next_free_vgpr 12
		.amdhsa_next_free_sgpr 16
		.amdhsa_reserve_vcc 1
		.amdhsa_float_round_mode_32 0
		.amdhsa_float_round_mode_16_64 0
		.amdhsa_float_denorm_mode_32 3
		.amdhsa_float_denorm_mode_16_64 3
		.amdhsa_dx10_clamp 1
		.amdhsa_ieee_mode 1
		.amdhsa_fp16_overflow 0
		.amdhsa_workgroup_processor_mode 1
		.amdhsa_memory_ordered 1
		.amdhsa_forward_progress 0
		.amdhsa_shared_vgpr_count 0
		.amdhsa_exception_fp_ieee_invalid_op 0
		.amdhsa_exception_fp_denorm_src 0
		.amdhsa_exception_fp_ieee_div_zero 0
		.amdhsa_exception_fp_ieee_overflow 0
		.amdhsa_exception_fp_ieee_underflow 0
		.amdhsa_exception_fp_ieee_inexact 0
		.amdhsa_exception_int_div_zero 0
	.end_amdhsa_kernel
	.section	.text._Z11rank_kernelILj128ELj1ELj4ELb0EL18RadixRankAlgorithm2E6__halfEvPKT4_Pijj,"axG",@progbits,_Z11rank_kernelILj128ELj1ELj4ELb0EL18RadixRankAlgorithm2E6__halfEvPKT4_Pijj,comdat
.Lfunc_end73:
	.size	_Z11rank_kernelILj128ELj1ELj4ELb0EL18RadixRankAlgorithm2E6__halfEvPKT4_Pijj, .Lfunc_end73-_Z11rank_kernelILj128ELj1ELj4ELb0EL18RadixRankAlgorithm2E6__halfEvPKT4_Pijj
                                        ; -- End function
	.section	.AMDGPU.csdata,"",@progbits
; Kernel info:
; codeLenInByte = 1072
; NumSgprs: 18
; NumVgprs: 12
; ScratchSize: 0
; MemoryBound: 0
; FloatMode: 240
; IeeeMode: 1
; LDSByteSize: 528 bytes/workgroup (compile time only)
; SGPRBlocks: 2
; VGPRBlocks: 1
; NumSGPRsForWavesPerEU: 18
; NumVGPRsForWavesPerEU: 12
; Occupancy: 16
; WaveLimiterHint : 0
; COMPUTE_PGM_RSRC2:SCRATCH_EN: 0
; COMPUTE_PGM_RSRC2:USER_SGPR: 15
; COMPUTE_PGM_RSRC2:TRAP_HANDLER: 0
; COMPUTE_PGM_RSRC2:TGID_X_EN: 1
; COMPUTE_PGM_RSRC2:TGID_Y_EN: 0
; COMPUTE_PGM_RSRC2:TGID_Z_EN: 0
; COMPUTE_PGM_RSRC2:TIDIG_COMP_CNT: 2
	.section	.text._Z11rank_kernelILj64ELj1ELj4ELb0EL18RadixRankAlgorithm2EjEvPKT4_Pijj,"axG",@progbits,_Z11rank_kernelILj64ELj1ELj4ELb0EL18RadixRankAlgorithm2EjEvPKT4_Pijj,comdat
	.protected	_Z11rank_kernelILj64ELj1ELj4ELb0EL18RadixRankAlgorithm2EjEvPKT4_Pijj ; -- Begin function _Z11rank_kernelILj64ELj1ELj4ELb0EL18RadixRankAlgorithm2EjEvPKT4_Pijj
	.globl	_Z11rank_kernelILj64ELj1ELj4ELb0EL18RadixRankAlgorithm2EjEvPKT4_Pijj
	.p2align	8
	.type	_Z11rank_kernelILj64ELj1ELj4ELb0EL18RadixRankAlgorithm2EjEvPKT4_Pijj,@function
_Z11rank_kernelILj64ELj1ELj4ELb0EL18RadixRankAlgorithm2EjEvPKT4_Pijj: ; @_Z11rank_kernelILj64ELj1ELj4ELb0EL18RadixRankAlgorithm2EjEvPKT4_Pijj
; %bb.0:
	s_clause 0x1
	s_load_b128 s[4:7], s[0:1], 0x0
	s_load_b64 s[8:9], s[0:1], 0x10
	v_and_b32_e32 v1, 0x3ff, v0
	s_mov_b32 s3, 0
	s_lshl_b32 s2, s15, 6
	v_mbcnt_lo_u32_b32 v4, -1, 0
	s_lshl_b64 s[2:3], s[2:3], 2
	v_lshlrev_b32_e32 v2, 2, v1
	v_and_b32_e32 v5, 32, v1
	s_load_b32 s0, s[0:1], 0x24
	v_bfe_u32 v10, v0, 10, 10
	v_bfe_u32 v0, v0, 20, 10
	s_delay_alu instid0(VALU_DEP_3) | instskip(NEXT) | instid1(VALU_DEP_1)
	v_or_b32_e32 v3, v4, v5
	v_lshlrev_b32_e32 v3, 2, v3
	s_waitcnt lgkmcnt(0)
	s_add_u32 s4, s4, s2
	s_addc_u32 s5, s5, s3
	s_and_b32 s1, s9, 31
	global_load_b32 v6, v2, s[4:5]
	s_and_b32 s4, s8, 31
	s_delay_alu instid0(SALU_CYCLE_1) | instskip(NEXT) | instid1(SALU_CYCLE_1)
	s_add_i32 s4, s4, s1
	s_sub_i32 s4, 32, s4
	s_lshr_b32 s5, s0, 16
	s_delay_alu instid0(SALU_CYCLE_1)
	v_mad_u32_u24 v0, v0, s5, v10
	s_waitcnt vmcnt(0)
	ds_store_b32 v3, v6
	; wave barrier
	ds_load_b32 v6, v3
	s_waitcnt lgkmcnt(0)
	s_barrier
	buffer_gl0_inv
	v_lshlrev_b32_e32 v6, s4, v6
	s_sub_i32 s4, 32, s1
	s_delay_alu instid0(VALU_DEP_1) | instid1(SALU_CYCLE_1)
	v_lshrrev_b32_e32 v6, s4, v6
	s_and_b32 s4, s0, 0xffff
	s_cmp_lg_u32 s1, 0
	s_cselect_b32 vcc_lo, -1, 0
	s_delay_alu instid0(VALU_DEP_1) | instskip(NEXT) | instid1(VALU_DEP_1)
	v_cndmask_b32_e32 v8, 0, v6, vcc_lo
	v_and_b32_e32 v6, 1, v8
	v_lshlrev_b32_e32 v7, 30, v8
	v_lshlrev_b32_e32 v11, 29, v8
	s_delay_alu instid0(VALU_DEP_3) | instskip(NEXT) | instid1(VALU_DEP_1)
	v_add_co_u32 v6, s0, v6, -1
	v_cndmask_b32_e64 v9, 0, 1, s0
	s_delay_alu instid0(VALU_DEP_4) | instskip(SKIP_2) | instid1(VALU_DEP_4)
	v_not_b32_e32 v12, v7
	v_cmp_gt_i32_e64 s0, 0, v7
	v_not_b32_e32 v7, v11
	v_cmp_ne_u32_e32 vcc_lo, 0, v9
	v_lshlrev_b32_e32 v9, 28, v8
	v_ashrrev_i32_e32 v12, 31, v12
	s_delay_alu instid0(VALU_DEP_4)
	v_ashrrev_i32_e32 v7, 31, v7
	v_lshl_add_u32 v8, v8, 1, v8
	v_xor_b32_e32 v6, vcc_lo, v6
	v_cmp_gt_i32_e32 vcc_lo, 0, v11
	v_not_b32_e32 v11, v9
	v_xor_b32_e32 v12, s0, v12
	v_cmp_gt_i32_e64 s0, 0, v9
	v_and_b32_e32 v6, exec_lo, v6
	v_xor_b32_e32 v10, vcc_lo, v7
	v_ashrrev_i32_e32 v9, 31, v11
	s_delay_alu instid0(VALU_DEP_3) | instskip(SKIP_1) | instid1(VALU_DEP_3)
	v_and_b32_e32 v11, v6, v12
	v_mad_u64_u32 v[6:7], null, v0, s4, v[1:2]
	v_xor_b32_e32 v0, s0, v9
	v_mov_b32_e32 v9, 0
	s_delay_alu instid0(VALU_DEP_4) | instskip(NEXT) | instid1(VALU_DEP_4)
	v_and_b32_e32 v7, v11, v10
	v_lshrrev_b32_e32 v6, 5, v6
	s_delay_alu instid0(VALU_DEP_2)
	v_and_b32_e32 v7, v7, v0
	ds_store_b32 v2, v9 offset:8
	s_waitcnt lgkmcnt(0)
	s_barrier
	v_add_lshl_u32 v6, v6, v8, 2
	v_mbcnt_lo_u32_b32 v0, v7, 0
	v_cmp_ne_u32_e64 s0, 0, v7
	buffer_gl0_inv
	; wave barrier
	v_cmp_eq_u32_e32 vcc_lo, 0, v0
	s_and_b32 s1, s0, vcc_lo
	s_delay_alu instid0(SALU_CYCLE_1)
	s_and_saveexec_b32 s0, s1
	s_cbranch_execz .LBB74_2
; %bb.1:
	v_bcnt_u32_b32 v7, v7, 0
	ds_store_b32 v6, v7 offset:8
.LBB74_2:
	s_or_b32 exec_lo, exec_lo, s0
	; wave barrier
	s_waitcnt lgkmcnt(0)
	s_barrier
	buffer_gl0_inv
	ds_load_b32 v7, v2 offset:8
	v_min_u32_e32 v5, 32, v5
	s_mov_b32 s0, exec_lo
	s_delay_alu instid0(VALU_DEP_1) | instskip(SKIP_3) | instid1(VALU_DEP_1)
	v_or_b32_e32 v10, 31, v5
	s_waitcnt lgkmcnt(0)
	v_mov_b32_dpp v9, v7 row_shr:1 row_mask:0xf bank_mask:0xf
	v_and_b32_e32 v8, 15, v4
	v_cmp_ne_u32_e32 vcc_lo, 0, v8
	s_delay_alu instid0(VALU_DEP_3) | instskip(SKIP_1) | instid1(VALU_DEP_2)
	v_cndmask_b32_e32 v9, 0, v9, vcc_lo
	v_cmp_lt_u32_e32 vcc_lo, 1, v8
	v_add_nc_u32_e32 v7, v9, v7
	s_delay_alu instid0(VALU_DEP_1) | instskip(NEXT) | instid1(VALU_DEP_1)
	v_mov_b32_dpp v9, v7 row_shr:2 row_mask:0xf bank_mask:0xf
	v_cndmask_b32_e32 v9, 0, v9, vcc_lo
	v_cmp_lt_u32_e32 vcc_lo, 3, v8
	s_delay_alu instid0(VALU_DEP_2) | instskip(NEXT) | instid1(VALU_DEP_1)
	v_add_nc_u32_e32 v7, v7, v9
	v_mov_b32_dpp v9, v7 row_shr:4 row_mask:0xf bank_mask:0xf
	s_delay_alu instid0(VALU_DEP_1) | instskip(SKIP_1) | instid1(VALU_DEP_2)
	v_cndmask_b32_e32 v9, 0, v9, vcc_lo
	v_cmp_lt_u32_e32 vcc_lo, 7, v8
	v_add_nc_u32_e32 v7, v7, v9
	s_delay_alu instid0(VALU_DEP_1) | instskip(NEXT) | instid1(VALU_DEP_1)
	v_mov_b32_dpp v9, v7 row_shr:8 row_mask:0xf bank_mask:0xf
	v_cndmask_b32_e32 v8, 0, v9, vcc_lo
	v_bfe_i32 v9, v4, 4, 1
	s_delay_alu instid0(VALU_DEP_2) | instskip(SKIP_4) | instid1(VALU_DEP_2)
	v_add_nc_u32_e32 v8, v7, v8
	ds_swizzle_b32 v7, v8 offset:swizzle(BROADCAST,32,15)
	s_waitcnt lgkmcnt(0)
	v_and_b32_e32 v9, v9, v7
	v_lshrrev_b32_e32 v7, 5, v1
	v_add_nc_u32_e32 v5, v8, v9
	v_cmpx_eq_u32_e64 v10, v1
	s_cbranch_execz .LBB74_4
; %bb.3:
	s_delay_alu instid0(VALU_DEP_3)
	v_lshlrev_b32_e32 v8, 2, v7
	ds_store_b32 v8, v5
.LBB74_4:
	s_or_b32 exec_lo, exec_lo, s0
	s_delay_alu instid0(SALU_CYCLE_1)
	s_mov_b32 s0, exec_lo
	s_waitcnt lgkmcnt(0)
	s_barrier
	buffer_gl0_inv
	v_cmpx_gt_u32_e32 2, v1
	s_cbranch_execz .LBB74_6
; %bb.5:
	ds_load_b32 v8, v2
	v_bfe_i32 v9, v4, 0, 1
	s_waitcnt lgkmcnt(0)
	v_mov_b32_dpp v10, v8 row_shr:1 row_mask:0xf bank_mask:0xf
	s_delay_alu instid0(VALU_DEP_1) | instskip(NEXT) | instid1(VALU_DEP_1)
	v_and_b32_e32 v9, v9, v10
	v_add_nc_u32_e32 v8, v9, v8
	ds_store_b32 v2, v8
.LBB74_6:
	s_or_b32 exec_lo, exec_lo, s0
	v_cmp_lt_u32_e32 vcc_lo, 31, v1
	v_mov_b32_e32 v1, 0
	s_waitcnt lgkmcnt(0)
	s_barrier
	buffer_gl0_inv
	s_and_saveexec_b32 s0, vcc_lo
	s_cbranch_execz .LBB74_8
; %bb.7:
	v_lshl_add_u32 v1, v7, 2, -4
	ds_load_b32 v1, v1
.LBB74_8:
	s_or_b32 exec_lo, exec_lo, s0
	v_add_nc_u32_e32 v7, -1, v4
	s_waitcnt lgkmcnt(0)
	v_add_nc_u32_e32 v5, v1, v5
	s_add_u32 s0, s6, s2
	s_addc_u32 s1, s7, s3
	v_cmp_gt_i32_e32 vcc_lo, 0, v7
	v_cndmask_b32_e32 v7, v7, v4, vcc_lo
	v_cmp_eq_u32_e32 vcc_lo, 0, v4
	s_delay_alu instid0(VALU_DEP_2)
	v_lshlrev_b32_e32 v7, 2, v7
	ds_bpermute_b32 v5, v7, v5
	s_waitcnt lgkmcnt(0)
	v_cndmask_b32_e32 v1, v5, v1, vcc_lo
	ds_store_b32 v2, v1 offset:8
	s_waitcnt lgkmcnt(0)
	s_barrier
	buffer_gl0_inv
	ds_load_b32 v1, v6 offset:8
	s_waitcnt lgkmcnt(0)
	s_barrier
	buffer_gl0_inv
	v_add_nc_u32_e32 v0, v1, v0
	ds_store_b32 v3, v0
	; wave barrier
	ds_load_b32 v0, v3
	s_waitcnt lgkmcnt(0)
	global_store_b32 v2, v0, s[0:1]
	s_nop 0
	s_sendmsg sendmsg(MSG_DEALLOC_VGPRS)
	s_endpgm
	.section	.rodata,"a",@progbits
	.p2align	6, 0x0
	.amdhsa_kernel _Z11rank_kernelILj64ELj1ELj4ELb0EL18RadixRankAlgorithm2EjEvPKT4_Pijj
		.amdhsa_group_segment_fixed_size 272
		.amdhsa_private_segment_fixed_size 0
		.amdhsa_kernarg_size 280
		.amdhsa_user_sgpr_count 15
		.amdhsa_user_sgpr_dispatch_ptr 0
		.amdhsa_user_sgpr_queue_ptr 0
		.amdhsa_user_sgpr_kernarg_segment_ptr 1
		.amdhsa_user_sgpr_dispatch_id 0
		.amdhsa_user_sgpr_private_segment_size 0
		.amdhsa_wavefront_size32 1
		.amdhsa_uses_dynamic_stack 0
		.amdhsa_enable_private_segment 0
		.amdhsa_system_sgpr_workgroup_id_x 1
		.amdhsa_system_sgpr_workgroup_id_y 0
		.amdhsa_system_sgpr_workgroup_id_z 0
		.amdhsa_system_sgpr_workgroup_info 0
		.amdhsa_system_vgpr_workitem_id 2
		.amdhsa_next_free_vgpr 13
		.amdhsa_next_free_sgpr 16
		.amdhsa_reserve_vcc 1
		.amdhsa_float_round_mode_32 0
		.amdhsa_float_round_mode_16_64 0
		.amdhsa_float_denorm_mode_32 3
		.amdhsa_float_denorm_mode_16_64 3
		.amdhsa_dx10_clamp 1
		.amdhsa_ieee_mode 1
		.amdhsa_fp16_overflow 0
		.amdhsa_workgroup_processor_mode 1
		.amdhsa_memory_ordered 1
		.amdhsa_forward_progress 0
		.amdhsa_shared_vgpr_count 0
		.amdhsa_exception_fp_ieee_invalid_op 0
		.amdhsa_exception_fp_denorm_src 0
		.amdhsa_exception_fp_ieee_div_zero 0
		.amdhsa_exception_fp_ieee_overflow 0
		.amdhsa_exception_fp_ieee_underflow 0
		.amdhsa_exception_fp_ieee_inexact 0
		.amdhsa_exception_int_div_zero 0
	.end_amdhsa_kernel
	.section	.text._Z11rank_kernelILj64ELj1ELj4ELb0EL18RadixRankAlgorithm2EjEvPKT4_Pijj,"axG",@progbits,_Z11rank_kernelILj64ELj1ELj4ELb0EL18RadixRankAlgorithm2EjEvPKT4_Pijj,comdat
.Lfunc_end74:
	.size	_Z11rank_kernelILj64ELj1ELj4ELb0EL18RadixRankAlgorithm2EjEvPKT4_Pijj, .Lfunc_end74-_Z11rank_kernelILj64ELj1ELj4ELb0EL18RadixRankAlgorithm2EjEvPKT4_Pijj
                                        ; -- End function
	.section	.AMDGPU.csdata,"",@progbits
; Kernel info:
; codeLenInByte = 972
; NumSgprs: 18
; NumVgprs: 13
; ScratchSize: 0
; MemoryBound: 0
; FloatMode: 240
; IeeeMode: 1
; LDSByteSize: 272 bytes/workgroup (compile time only)
; SGPRBlocks: 2
; VGPRBlocks: 1
; NumSGPRsForWavesPerEU: 18
; NumVGPRsForWavesPerEU: 13
; Occupancy: 16
; WaveLimiterHint : 0
; COMPUTE_PGM_RSRC2:SCRATCH_EN: 0
; COMPUTE_PGM_RSRC2:USER_SGPR: 15
; COMPUTE_PGM_RSRC2:TRAP_HANDLER: 0
; COMPUTE_PGM_RSRC2:TGID_X_EN: 1
; COMPUTE_PGM_RSRC2:TGID_Y_EN: 0
; COMPUTE_PGM_RSRC2:TGID_Z_EN: 0
; COMPUTE_PGM_RSRC2:TIDIG_COMP_CNT: 2
	.text
	.p2alignl 7, 3214868480
	.fill 96, 4, 3214868480
	.type	__hip_cuid_b48c65c95ebdfa0c,@object ; @__hip_cuid_b48c65c95ebdfa0c
	.section	.bss,"aw",@nobits
	.globl	__hip_cuid_b48c65c95ebdfa0c
__hip_cuid_b48c65c95ebdfa0c:
	.byte	0                               ; 0x0
	.size	__hip_cuid_b48c65c95ebdfa0c, 1

	.ident	"AMD clang version 19.0.0git (https://github.com/RadeonOpenCompute/llvm-project roc-6.4.0 25133 c7fe45cf4b819c5991fe208aaa96edf142730f1d)"
	.section	".note.GNU-stack","",@progbits
	.addrsig
	.addrsig_sym __hip_cuid_b48c65c95ebdfa0c
	.amdgpu_metadata
---
amdhsa.kernels:
  - .args:
      - .address_space:  global
        .offset:         0
        .size:           8
        .value_kind:     global_buffer
      - .address_space:  global
        .offset:         8
        .size:           8
        .value_kind:     global_buffer
      - .offset:         16
        .size:           4
        .value_kind:     by_value
      - .offset:         20
        .size:           4
        .value_kind:     by_value
    .group_segment_fixed_size: 6208
    .kernarg_segment_align: 8
    .kernarg_segment_size: 24
    .language:       OpenCL C
    .language_version:
      - 2
      - 0
    .max_flat_workgroup_size: 193
    .name:           _Z11rank_kernelILj193ELj2ELj4ELb1EL18RadixRankAlgorithm0E12hip_bfloat16EvPKT4_Pijj
    .private_segment_fixed_size: 0
    .sgpr_count:     18
    .sgpr_spill_count: 0
    .symbol:         _Z11rank_kernelILj193ELj2ELj4ELb1EL18RadixRankAlgorithm0E12hip_bfloat16EvPKT4_Pijj.kd
    .uniform_work_group_size: 1
    .uses_dynamic_stack: false
    .vgpr_count:     15
    .vgpr_spill_count: 0
    .wavefront_size: 32
    .workgroup_processor_mode: 1
  - .args:
      - .address_space:  global
        .offset:         0
        .size:           8
        .value_kind:     global_buffer
      - .address_space:  global
        .offset:         8
        .size:           8
        .value_kind:     global_buffer
      - .offset:         16
        .size:           4
        .value_kind:     by_value
      - .offset:         20
        .size:           4
        .value_kind:     by_value
    .group_segment_fixed_size: 6208
    .kernarg_segment_align: 8
    .kernarg_segment_size: 24
    .language:       OpenCL C
    .language_version:
      - 2
      - 0
    .max_flat_workgroup_size: 193
    .name:           _Z11rank_kernelILj193ELj2ELj4ELb1EL18RadixRankAlgorithm0E6__halfEvPKT4_Pijj
    .private_segment_fixed_size: 0
    .sgpr_count:     18
    .sgpr_spill_count: 0
    .symbol:         _Z11rank_kernelILj193ELj2ELj4ELb1EL18RadixRankAlgorithm0E6__halfEvPKT4_Pijj.kd
    .uniform_work_group_size: 1
    .uses_dynamic_stack: false
    .vgpr_count:     15
    .vgpr_spill_count: 0
    .wavefront_size: 32
    .workgroup_processor_mode: 1
  - .args:
      - .address_space:  global
        .offset:         0
        .size:           8
        .value_kind:     global_buffer
      - .address_space:  global
        .offset:         8
        .size:           8
        .value_kind:     global_buffer
      - .offset:         16
        .size:           4
        .value_kind:     by_value
      - .offset:         20
        .size:           4
        .value_kind:     by_value
    .group_segment_fixed_size: 20768
    .kernarg_segment_align: 8
    .kernarg_segment_size: 24
    .language:       OpenCL C
    .language_version:
      - 2
      - 0
    .max_flat_workgroup_size: 162
    .name:           _Z11rank_kernelILj162ELj2ELj6ELb1EL18RadixRankAlgorithm0EjEvPKT4_Pijj
    .private_segment_fixed_size: 0
    .sgpr_count:     18
    .sgpr_spill_count: 0
    .symbol:         _Z11rank_kernelILj162ELj2ELj6ELb1EL18RadixRankAlgorithm0EjEvPKT4_Pijj.kd
    .uniform_work_group_size: 1
    .uses_dynamic_stack: false
    .vgpr_count:     38
    .vgpr_spill_count: 0
    .wavefront_size: 32
    .workgroup_processor_mode: 1
  - .args:
      - .address_space:  global
        .offset:         0
        .size:           8
        .value_kind:     global_buffer
      - .address_space:  global
        .offset:         8
        .size:           8
        .value_kind:     global_buffer
      - .offset:         16
        .size:           4
        .value_kind:     by_value
      - .offset:         20
        .size:           4
        .value_kind:     by_value
    .group_segment_fixed_size: 976
    .kernarg_segment_align: 8
    .kernarg_segment_size: 24
    .language:       OpenCL C
    .language_version:
      - 2
      - 0
    .max_flat_workgroup_size: 60
    .name:           _Z11rank_kernelILj60ELj1ELj3ELb1EL18RadixRankAlgorithm0EfEvPKT4_Pijj
    .private_segment_fixed_size: 0
    .sgpr_count:     18
    .sgpr_spill_count: 0
    .symbol:         _Z11rank_kernelILj60ELj1ELj3ELb1EL18RadixRankAlgorithm0EfEvPKT4_Pijj.kd
    .uniform_work_group_size: 1
    .uses_dynamic_stack: false
    .vgpr_count:     11
    .vgpr_spill_count: 0
    .wavefront_size: 32
    .workgroup_processor_mode: 1
  - .args:
      - .address_space:  global
        .offset:         0
        .size:           8
        .value_kind:     global_buffer
      - .address_space:  global
        .offset:         8
        .size:           8
        .value_kind:     global_buffer
      - .offset:         16
        .size:           4
        .value_kind:     by_value
      - .offset:         20
        .size:           4
        .value_kind:     by_value
    .group_segment_fixed_size: 1648
    .kernarg_segment_align: 8
    .kernarg_segment_size: 24
    .language:       OpenCL C
    .language_version:
      - 2
      - 0
    .max_flat_workgroup_size: 102
    .name:           _Z11rank_kernelILj102ELj3ELj3ELb1EL18RadixRankAlgorithm0EtEvPKT4_Pijj
    .private_segment_fixed_size: 0
    .sgpr_count:     18
    .sgpr_spill_count: 0
    .symbol:         _Z11rank_kernelILj102ELj3ELj3ELb1EL18RadixRankAlgorithm0EtEvPKT4_Pijj.kd
    .uniform_work_group_size: 1
    .uses_dynamic_stack: false
    .vgpr_count:     16
    .vgpr_spill_count: 0
    .wavefront_size: 32
    .workgroup_processor_mode: 1
  - .args:
      - .address_space:  global
        .offset:         0
        .size:           8
        .value_kind:     global_buffer
      - .address_space:  global
        .offset:         8
        .size:           8
        .value_kind:     global_buffer
      - .offset:         16
        .size:           4
        .value_kind:     by_value
      - .offset:         20
        .size:           4
        .value_kind:     by_value
    .group_segment_fixed_size: 4112
    .kernarg_segment_align: 8
    .kernarg_segment_size: 24
    .language:       OpenCL C
    .language_version:
      - 2
      - 0
    .max_flat_workgroup_size: 64
    .name:           _Z11rank_kernelILj64ELj1ELj5ELb0EL18RadixRankAlgorithm0EyEvPKT4_Pijj
    .private_segment_fixed_size: 0
    .sgpr_count:     18
    .sgpr_spill_count: 0
    .symbol:         _Z11rank_kernelILj64ELj1ELj5ELb0EL18RadixRankAlgorithm0EyEvPKT4_Pijj.kd
    .uniform_work_group_size: 1
    .uses_dynamic_stack: false
    .vgpr_count:     20
    .vgpr_spill_count: 0
    .wavefront_size: 32
    .workgroup_processor_mode: 1
  - .args:
      - .address_space:  global
        .offset:         0
        .size:           8
        .value_kind:     global_buffer
      - .address_space:  global
        .offset:         8
        .size:           8
        .value_kind:     global_buffer
      - .offset:         16
        .size:           4
        .value_kind:     by_value
      - .offset:         20
        .size:           4
        .value_kind:     by_value
    .group_segment_fixed_size: 8432
    .kernarg_segment_align: 8
    .kernarg_segment_size: 24
    .language:       OpenCL C
    .language_version:
      - 2
      - 0
    .max_flat_workgroup_size: 234
    .name:           _Z11rank_kernelILj234ELj9ELj4ELb0EL18RadixRankAlgorithm0E12hip_bfloat16EvPKT4_Pijj
    .private_segment_fixed_size: 0
    .sgpr_count:     18
    .sgpr_spill_count: 0
    .symbol:         _Z11rank_kernelILj234ELj9ELj4ELb0EL18RadixRankAlgorithm0E12hip_bfloat16EvPKT4_Pijj.kd
    .uniform_work_group_size: 1
    .uses_dynamic_stack: false
    .vgpr_count:     29
    .vgpr_spill_count: 0
    .wavefront_size: 32
    .workgroup_processor_mode: 1
  - .args:
      - .address_space:  global
        .offset:         0
        .size:           8
        .value_kind:     global_buffer
      - .address_space:  global
        .offset:         8
        .size:           8
        .value_kind:     global_buffer
      - .offset:         16
        .size:           4
        .value_kind:     by_value
      - .offset:         20
        .size:           4
        .value_kind:     by_value
    .group_segment_fixed_size: 8432
    .kernarg_segment_align: 8
    .kernarg_segment_size: 24
    .language:       OpenCL C
    .language_version:
      - 2
      - 0
    .max_flat_workgroup_size: 234
    .name:           _Z11rank_kernelILj234ELj9ELj4ELb0EL18RadixRankAlgorithm0E6__halfEvPKT4_Pijj
    .private_segment_fixed_size: 0
    .sgpr_count:     18
    .sgpr_spill_count: 0
    .symbol:         _Z11rank_kernelILj234ELj9ELj4ELb0EL18RadixRankAlgorithm0E6__halfEvPKT4_Pijj.kd
    .uniform_work_group_size: 1
    .uses_dynamic_stack: false
    .vgpr_count:     29
    .vgpr_spill_count: 0
    .wavefront_size: 32
    .workgroup_processor_mode: 1
  - .args:
      - .address_space:  global
        .offset:         0
        .size:           8
        .value_kind:     global_buffer
      - .address_space:  global
        .offset:         8
        .size:           8
        .value_kind:     global_buffer
      - .offset:         16
        .size:           4
        .value_kind:     by_value
      - .offset:         20
        .size:           4
        .value_kind:     by_value
    .group_segment_fixed_size: 3216
    .kernarg_segment_align: 8
    .kernarg_segment_size: 24
    .language:       OpenCL C
    .language_version:
      - 2
      - 0
    .max_flat_workgroup_size: 100
    .name:           _Z11rank_kernelILj100ELj3ELj4ELb0EL18RadixRankAlgorithm0EtEvPKT4_Pijj
    .private_segment_fixed_size: 0
    .sgpr_count:     18
    .sgpr_spill_count: 0
    .symbol:         _Z11rank_kernelILj100ELj3ELj4ELb0EL18RadixRankAlgorithm0EtEvPKT4_Pijj.kd
    .uniform_work_group_size: 1
    .uses_dynamic_stack: false
    .vgpr_count:     18
    .vgpr_spill_count: 0
    .wavefront_size: 32
    .workgroup_processor_mode: 1
  - .args:
      - .address_space:  global
        .offset:         0
        .size:           8
        .value_kind:     global_buffer
      - .address_space:  global
        .offset:         8
        .size:           8
        .value_kind:     global_buffer
      - .offset:         16
        .size:           4
        .value_kind:     by_value
      - .offset:         20
        .size:           4
        .value_kind:     by_value
    .group_segment_fixed_size: 14912
    .kernarg_segment_align: 8
    .kernarg_segment_size: 24
    .language:       OpenCL C
    .language_version:
      - 2
      - 0
    .max_flat_workgroup_size: 464
    .name:           _Z11rank_kernelILj464ELj2ELj4ELb1EL18RadixRankAlgorithm0EcEvPKT4_Pijj
    .private_segment_fixed_size: 0
    .sgpr_count:     18
    .sgpr_spill_count: 0
    .symbol:         _Z11rank_kernelILj464ELj2ELj4ELb1EL18RadixRankAlgorithm0EcEvPKT4_Pijj.kd
    .uniform_work_group_size: 1
    .uses_dynamic_stack: false
    .vgpr_count:     15
    .vgpr_spill_count: 0
    .wavefront_size: 32
    .workgroup_processor_mode: 1
  - .args:
      - .address_space:  global
        .offset:         0
        .size:           8
        .value_kind:     global_buffer
      - .address_space:  global
        .offset:         8
        .size:           8
        .value_kind:     global_buffer
      - .offset:         16
        .size:           4
        .value_kind:     by_value
      - .offset:         20
        .size:           4
        .value_kind:     by_value
    .group_segment_fixed_size: 1328
    .kernarg_segment_align: 8
    .kernarg_segment_size: 24
    .language:       OpenCL C
    .language_version:
      - 2
      - 0
    .max_flat_workgroup_size: 33
    .name:           _Z11rank_kernelILj33ELj5ELj4ELb0EL18RadixRankAlgorithm0EdEvPKT4_Pijj
    .private_segment_fixed_size: 0
    .sgpr_count:     18
    .sgpr_spill_count: 0
    .symbol:         _Z11rank_kernelILj33ELj5ELj4ELb0EL18RadixRankAlgorithm0EdEvPKT4_Pijj.kd
    .uniform_work_group_size: 1
    .uses_dynamic_stack: false
    .vgpr_count:     23
    .vgpr_spill_count: 0
    .wavefront_size: 32
    .workgroup_processor_mode: 1
  - .args:
      - .address_space:  global
        .offset:         0
        .size:           8
        .value_kind:     global_buffer
      - .address_space:  global
        .offset:         8
        .size:           8
        .value_kind:     global_buffer
      - .offset:         16
        .size:           4
        .value_kind:     by_value
      - .offset:         20
        .size:           4
        .value_kind:     by_value
    .group_segment_fixed_size: 16448
    .kernarg_segment_align: 8
    .kernarg_segment_size: 24
    .language:       OpenCL C
    .language_version:
      - 2
      - 0
    .max_flat_workgroup_size: 512
    .name:           _Z11rank_kernelILj512ELj2ELj4ELb0EL18RadixRankAlgorithm0EfEvPKT4_Pijj
    .private_segment_fixed_size: 0
    .sgpr_count:     18
    .sgpr_spill_count: 0
    .symbol:         _Z11rank_kernelILj512ELj2ELj4ELb0EL18RadixRankAlgorithm0EfEvPKT4_Pijj.kd
    .uniform_work_group_size: 1
    .uses_dynamic_stack: false
    .vgpr_count:     15
    .vgpr_spill_count: 0
    .wavefront_size: 32
    .workgroup_processor_mode: 1
  - .args:
      - .address_space:  global
        .offset:         0
        .size:           8
        .value_kind:     global_buffer
      - .address_space:  global
        .offset:         8
        .size:           8
        .value_kind:     global_buffer
      - .offset:         16
        .size:           4
        .value_kind:     by_value
      - .offset:         20
        .size:           4
        .value_kind:     by_value
    .group_segment_fixed_size: 8224
    .kernarg_segment_align: 8
    .kernarg_segment_size: 24
    .language:       OpenCL C
    .language_version:
      - 2
      - 0
    .max_flat_workgroup_size: 256
    .name:           _Z11rank_kernelILj256ELj7ELj4ELb0EL18RadixRankAlgorithm0EtEvPKT4_Pijj
    .private_segment_fixed_size: 0
    .sgpr_count:     18
    .sgpr_spill_count: 0
    .symbol:         _Z11rank_kernelILj256ELj7ELj4ELb0EL18RadixRankAlgorithm0EtEvPKT4_Pijj.kd
    .uniform_work_group_size: 1
    .uses_dynamic_stack: false
    .vgpr_count:     25
    .vgpr_spill_count: 0
    .wavefront_size: 32
    .workgroup_processor_mode: 1
  - .args:
      - .address_space:  global
        .offset:         0
        .size:           8
        .value_kind:     global_buffer
      - .address_space:  global
        .offset:         8
        .size:           8
        .value_kind:     global_buffer
      - .offset:         16
        .size:           4
        .value_kind:     by_value
      - .offset:         20
        .size:           4
        .value_kind:     by_value
    .group_segment_fixed_size: 4112
    .kernarg_segment_align: 8
    .kernarg_segment_size: 24
    .language:       OpenCL C
    .language_version:
      - 2
      - 0
    .max_flat_workgroup_size: 128
    .name:           _Z11rank_kernelILj128ELj4ELj4ELb0EL18RadixRankAlgorithm0EiEvPKT4_Pijj
    .private_segment_fixed_size: 0
    .sgpr_count:     18
    .sgpr_spill_count: 0
    .symbol:         _Z11rank_kernelILj128ELj4ELj4ELb0EL18RadixRankAlgorithm0EiEvPKT4_Pijj.kd
    .uniform_work_group_size: 1
    .uses_dynamic_stack: false
    .vgpr_count:     19
    .vgpr_spill_count: 0
    .wavefront_size: 32
    .workgroup_processor_mode: 1
  - .args:
      - .address_space:  global
        .offset:         0
        .size:           8
        .value_kind:     global_buffer
      - .address_space:  global
        .offset:         8
        .size:           8
        .value_kind:     global_buffer
      - .offset:         16
        .size:           4
        .value_kind:     by_value
      - .offset:         20
        .size:           4
        .value_kind:     by_value
    .group_segment_fixed_size: 2064
    .kernarg_segment_align: 8
    .kernarg_segment_size: 24
    .language:       OpenCL C
    .language_version:
      - 2
      - 0
    .max_flat_workgroup_size: 64
    .name:           _Z11rank_kernelILj64ELj2ELj4ELb1EL18RadixRankAlgorithm0EyEvPKT4_Pijj
    .private_segment_fixed_size: 0
    .sgpr_count:     18
    .sgpr_spill_count: 0
    .symbol:         _Z11rank_kernelILj64ELj2ELj4ELb1EL18RadixRankAlgorithm0EyEvPKT4_Pijj.kd
    .uniform_work_group_size: 1
    .uses_dynamic_stack: false
    .vgpr_count:     16
    .vgpr_spill_count: 0
    .wavefront_size: 32
    .workgroup_processor_mode: 1
  - .args:
      - .address_space:  global
        .offset:         0
        .size:           8
        .value_kind:     global_buffer
      - .address_space:  global
        .offset:         8
        .size:           8
        .value_kind:     global_buffer
      - .offset:         16
        .size:           4
        .value_kind:     by_value
      - .offset:         20
        .size:           4
        .value_kind:     by_value
    .group_segment_fixed_size: 8192
    .kernarg_segment_align: 8
    .kernarg_segment_size: 24
    .language:       OpenCL C
    .language_version:
      - 2
      - 0
    .max_flat_workgroup_size: 255
    .name:           _Z11rank_kernelILj255ELj1ELj4ELb0EL18RadixRankAlgorithm0EhEvPKT4_Pijj
    .private_segment_fixed_size: 0
    .sgpr_count:     18
    .sgpr_spill_count: 0
    .symbol:         _Z11rank_kernelILj255ELj1ELj4ELb0EL18RadixRankAlgorithm0EhEvPKT4_Pijj.kd
    .uniform_work_group_size: 1
    .uses_dynamic_stack: false
    .vgpr_count:     12
    .vgpr_spill_count: 0
    .wavefront_size: 32
    .workgroup_processor_mode: 1
  - .args:
      - .address_space:  global
        .offset:         0
        .size:           8
        .value_kind:     global_buffer
      - .address_space:  global
        .offset:         8
        .size:           8
        .value_kind:     global_buffer
      - .offset:         16
        .size:           4
        .value_kind:     by_value
      - .offset:         20
        .size:           4
        .value_kind:     by_value
    .group_segment_fixed_size: 5216
    .kernarg_segment_align: 8
    .kernarg_segment_size: 24
    .language:       OpenCL C
    .language_version:
      - 2
      - 0
    .max_flat_workgroup_size: 162
    .name:           _Z11rank_kernelILj162ELj1ELj4ELb0EL18RadixRankAlgorithm0EjEvPKT4_Pijj
    .private_segment_fixed_size: 0
    .sgpr_count:     18
    .sgpr_spill_count: 0
    .symbol:         _Z11rank_kernelILj162ELj1ELj4ELb0EL18RadixRankAlgorithm0EjEvPKT4_Pijj.kd
    .uniform_work_group_size: 1
    .uses_dynamic_stack: false
    .vgpr_count:     12
    .vgpr_spill_count: 0
    .wavefront_size: 32
    .workgroup_processor_mode: 1
  - .args:
      - .address_space:  global
        .offset:         0
        .size:           8
        .value_kind:     global_buffer
      - .address_space:  global
        .offset:         8
        .size:           8
        .value_kind:     global_buffer
      - .offset:         16
        .size:           4
        .value_kind:     by_value
      - .offset:         20
        .size:           4
        .value_kind:     by_value
    .group_segment_fixed_size: 16384
    .kernarg_segment_align: 8
    .kernarg_segment_size: 24
    .language:       OpenCL C
    .language_version:
      - 2
      - 0
    .max_flat_workgroup_size: 510
    .name:           _Z11rank_kernelILj510ELj1ELj4ELb1EL18RadixRankAlgorithm0ExEvPKT4_Pijj
    .private_segment_fixed_size: 0
    .sgpr_count:     18
    .sgpr_spill_count: 0
    .symbol:         _Z11rank_kernelILj510ELj1ELj4ELb1EL18RadixRankAlgorithm0ExEvPKT4_Pijj.kd
    .uniform_work_group_size: 1
    .uses_dynamic_stack: false
    .vgpr_count:     12
    .vgpr_spill_count: 0
    .wavefront_size: 32
    .workgroup_processor_mode: 1
  - .args:
      - .address_space:  global
        .offset:         0
        .size:           8
        .value_kind:     global_buffer
      - .address_space:  global
        .offset:         8
        .size:           8
        .value_kind:     global_buffer
      - .offset:         16
        .size:           4
        .value_kind:     by_value
      - .offset:         20
        .size:           4
        .value_kind:     by_value
    .group_segment_fixed_size: 1200
    .kernarg_segment_align: 8
    .kernarg_segment_size: 24
    .language:       OpenCL C
    .language_version:
      - 2
      - 0
    .max_flat_workgroup_size: 37
    .name:           _Z11rank_kernelILj37ELj1ELj4ELb0EL18RadixRankAlgorithm0EfEvPKT4_Pijj
    .private_segment_fixed_size: 0
    .sgpr_count:     18
    .sgpr_spill_count: 0
    .symbol:         _Z11rank_kernelILj37ELj1ELj4ELb0EL18RadixRankAlgorithm0EfEvPKT4_Pijj.kd
    .uniform_work_group_size: 1
    .uses_dynamic_stack: false
    .vgpr_count:     13
    .vgpr_spill_count: 0
    .wavefront_size: 32
    .workgroup_processor_mode: 1
  - .args:
      - .address_space:  global
        .offset:         0
        .size:           8
        .value_kind:     global_buffer
      - .address_space:  global
        .offset:         8
        .size:           8
        .value_kind:     global_buffer
      - .offset:         16
        .size:           4
        .value_kind:     by_value
      - .offset:         20
        .size:           4
        .value_kind:     by_value
    .group_segment_fixed_size: 2096
    .kernarg_segment_align: 8
    .kernarg_segment_size: 24
    .language:       OpenCL C
    .language_version:
      - 2
      - 0
    .max_flat_workgroup_size: 65
    .name:           _Z11rank_kernelILj65ELj1ELj4ELb0EL18RadixRankAlgorithm0EdEvPKT4_Pijj
    .private_segment_fixed_size: 0
    .sgpr_count:     18
    .sgpr_spill_count: 0
    .symbol:         _Z11rank_kernelILj65ELj1ELj4ELb0EL18RadixRankAlgorithm0EdEvPKT4_Pijj.kd
    .uniform_work_group_size: 1
    .uses_dynamic_stack: false
    .vgpr_count:     14
    .vgpr_spill_count: 0
    .wavefront_size: 32
    .workgroup_processor_mode: 1
  - .args:
      - .address_space:  global
        .offset:         0
        .size:           8
        .value_kind:     global_buffer
      - .address_space:  global
        .offset:         8
        .size:           8
        .value_kind:     global_buffer
      - .offset:         16
        .size:           4
        .value_kind:     by_value
      - .offset:         20
        .size:           4
        .value_kind:     by_value
    .group_segment_fixed_size: 16448
    .kernarg_segment_align: 8
    .kernarg_segment_size: 24
    .language:       OpenCL C
    .language_version:
      - 2
      - 0
    .max_flat_workgroup_size: 512
    .name:           _Z11rank_kernelILj512ELj1ELj4ELb1EL18RadixRankAlgorithm0EtEvPKT4_Pijj
    .private_segment_fixed_size: 0
    .sgpr_count:     18
    .sgpr_spill_count: 0
    .symbol:         _Z11rank_kernelILj512ELj1ELj4ELb1EL18RadixRankAlgorithm0EtEvPKT4_Pijj.kd
    .uniform_work_group_size: 1
    .uses_dynamic_stack: false
    .vgpr_count:     12
    .vgpr_spill_count: 0
    .wavefront_size: 32
    .workgroup_processor_mode: 1
  - .args:
      - .address_space:  global
        .offset:         0
        .size:           8
        .value_kind:     global_buffer
      - .address_space:  global
        .offset:         8
        .size:           8
        .value_kind:     global_buffer
      - .offset:         16
        .size:           4
        .value_kind:     by_value
      - .offset:         20
        .size:           4
        .value_kind:     by_value
    .group_segment_fixed_size: 8224
    .kernarg_segment_align: 8
    .kernarg_segment_size: 24
    .language:       OpenCL C
    .language_version:
      - 2
      - 0
    .max_flat_workgroup_size: 256
    .name:           _Z11rank_kernelILj256ELj1ELj4ELb0EL18RadixRankAlgorithm0EfEvPKT4_Pijj
    .private_segment_fixed_size: 0
    .sgpr_count:     18
    .sgpr_spill_count: 0
    .symbol:         _Z11rank_kernelILj256ELj1ELj4ELb0EL18RadixRankAlgorithm0EfEvPKT4_Pijj.kd
    .uniform_work_group_size: 1
    .uses_dynamic_stack: false
    .vgpr_count:     12
    .vgpr_spill_count: 0
    .wavefront_size: 32
    .workgroup_processor_mode: 1
  - .args:
      - .address_space:  global
        .offset:         0
        .size:           8
        .value_kind:     global_buffer
      - .address_space:  global
        .offset:         8
        .size:           8
        .value_kind:     global_buffer
      - .offset:         16
        .size:           4
        .value_kind:     by_value
      - .offset:         20
        .size:           4
        .value_kind:     by_value
    .group_segment_fixed_size: 4112
    .kernarg_segment_align: 8
    .kernarg_segment_size: 24
    .language:       OpenCL C
    .language_version:
      - 2
      - 0
    .max_flat_workgroup_size: 128
    .name:           _Z11rank_kernelILj128ELj1ELj4ELb0EL18RadixRankAlgorithm0E12hip_bfloat16EvPKT4_Pijj
    .private_segment_fixed_size: 0
    .sgpr_count:     18
    .sgpr_spill_count: 0
    .symbol:         _Z11rank_kernelILj128ELj1ELj4ELb0EL18RadixRankAlgorithm0E12hip_bfloat16EvPKT4_Pijj.kd
    .uniform_work_group_size: 1
    .uses_dynamic_stack: false
    .vgpr_count:     12
    .vgpr_spill_count: 0
    .wavefront_size: 32
    .workgroup_processor_mode: 1
  - .args:
      - .address_space:  global
        .offset:         0
        .size:           8
        .value_kind:     global_buffer
      - .address_space:  global
        .offset:         8
        .size:           8
        .value_kind:     global_buffer
      - .offset:         16
        .size:           4
        .value_kind:     by_value
      - .offset:         20
        .size:           4
        .value_kind:     by_value
    .group_segment_fixed_size: 4112
    .kernarg_segment_align: 8
    .kernarg_segment_size: 24
    .language:       OpenCL C
    .language_version:
      - 2
      - 0
    .max_flat_workgroup_size: 128
    .name:           _Z11rank_kernelILj128ELj1ELj4ELb0EL18RadixRankAlgorithm0E6__halfEvPKT4_Pijj
    .private_segment_fixed_size: 0
    .sgpr_count:     18
    .sgpr_spill_count: 0
    .symbol:         _Z11rank_kernelILj128ELj1ELj4ELb0EL18RadixRankAlgorithm0E6__halfEvPKT4_Pijj.kd
    .uniform_work_group_size: 1
    .uses_dynamic_stack: false
    .vgpr_count:     12
    .vgpr_spill_count: 0
    .wavefront_size: 32
    .workgroup_processor_mode: 1
  - .args:
      - .address_space:  global
        .offset:         0
        .size:           8
        .value_kind:     global_buffer
      - .address_space:  global
        .offset:         8
        .size:           8
        .value_kind:     global_buffer
      - .offset:         16
        .size:           4
        .value_kind:     by_value
      - .offset:         20
        .size:           4
        .value_kind:     by_value
    .group_segment_fixed_size: 2064
    .kernarg_segment_align: 8
    .kernarg_segment_size: 24
    .language:       OpenCL C
    .language_version:
      - 2
      - 0
    .max_flat_workgroup_size: 64
    .name:           _Z11rank_kernelILj64ELj1ELj4ELb0EL18RadixRankAlgorithm0EjEvPKT4_Pijj
    .private_segment_fixed_size: 0
    .sgpr_count:     18
    .sgpr_spill_count: 0
    .symbol:         _Z11rank_kernelILj64ELj1ELj4ELb0EL18RadixRankAlgorithm0EjEvPKT4_Pijj.kd
    .uniform_work_group_size: 1
    .uses_dynamic_stack: false
    .vgpr_count:     13
    .vgpr_spill_count: 0
    .wavefront_size: 32
    .workgroup_processor_mode: 1
  - .args:
      - .address_space:  global
        .offset:         0
        .size:           8
        .value_kind:     global_buffer
      - .address_space:  global
        .offset:         8
        .size:           8
        .value_kind:     global_buffer
      - .offset:         16
        .size:           4
        .value_kind:     by_value
      - .offset:         20
        .size:           4
        .value_kind:     by_value
    .group_segment_fixed_size: 6208
    .kernarg_segment_align: 8
    .kernarg_segment_size: 24
    .language:       OpenCL C
    .language_version:
      - 2
      - 0
    .max_flat_workgroup_size: 193
    .name:           _Z11rank_kernelILj193ELj2ELj4ELb1EL18RadixRankAlgorithm1E12hip_bfloat16EvPKT4_Pijj
    .private_segment_fixed_size: 0
    .sgpr_count:     18
    .sgpr_spill_count: 0
    .symbol:         _Z11rank_kernelILj193ELj2ELj4ELb1EL18RadixRankAlgorithm1E12hip_bfloat16EvPKT4_Pijj.kd
    .uniform_work_group_size: 1
    .uses_dynamic_stack: false
    .vgpr_count:     21
    .vgpr_spill_count: 0
    .wavefront_size: 32
    .workgroup_processor_mode: 1
  - .args:
      - .address_space:  global
        .offset:         0
        .size:           8
        .value_kind:     global_buffer
      - .address_space:  global
        .offset:         8
        .size:           8
        .value_kind:     global_buffer
      - .offset:         16
        .size:           4
        .value_kind:     by_value
      - .offset:         20
        .size:           4
        .value_kind:     by_value
    .group_segment_fixed_size: 6208
    .kernarg_segment_align: 8
    .kernarg_segment_size: 24
    .language:       OpenCL C
    .language_version:
      - 2
      - 0
    .max_flat_workgroup_size: 193
    .name:           _Z11rank_kernelILj193ELj2ELj4ELb1EL18RadixRankAlgorithm1E6__halfEvPKT4_Pijj
    .private_segment_fixed_size: 0
    .sgpr_count:     18
    .sgpr_spill_count: 0
    .symbol:         _Z11rank_kernelILj193ELj2ELj4ELb1EL18RadixRankAlgorithm1E6__halfEvPKT4_Pijj.kd
    .uniform_work_group_size: 1
    .uses_dynamic_stack: false
    .vgpr_count:     21
    .vgpr_spill_count: 0
    .wavefront_size: 32
    .workgroup_processor_mode: 1
  - .args:
      - .address_space:  global
        .offset:         0
        .size:           8
        .value_kind:     global_buffer
      - .address_space:  global
        .offset:         8
        .size:           8
        .value_kind:     global_buffer
      - .offset:         16
        .size:           4
        .value_kind:     by_value
      - .offset:         20
        .size:           4
        .value_kind:     by_value
    .group_segment_fixed_size: 20768
    .kernarg_segment_align: 8
    .kernarg_segment_size: 24
    .language:       OpenCL C
    .language_version:
      - 2
      - 0
    .max_flat_workgroup_size: 162
    .name:           _Z11rank_kernelILj162ELj2ELj6ELb1EL18RadixRankAlgorithm1EjEvPKT4_Pijj
    .private_segment_fixed_size: 0
    .sgpr_count:     18
    .sgpr_spill_count: 0
    .symbol:         _Z11rank_kernelILj162ELj2ELj6ELb1EL18RadixRankAlgorithm1EjEvPKT4_Pijj.kd
    .uniform_work_group_size: 1
    .uses_dynamic_stack: false
    .vgpr_count:     45
    .vgpr_spill_count: 0
    .wavefront_size: 32
    .workgroup_processor_mode: 1
  - .args:
      - .address_space:  global
        .offset:         0
        .size:           8
        .value_kind:     global_buffer
      - .address_space:  global
        .offset:         8
        .size:           8
        .value_kind:     global_buffer
      - .offset:         16
        .size:           4
        .value_kind:     by_value
      - .offset:         20
        .size:           4
        .value_kind:     by_value
    .group_segment_fixed_size: 976
    .kernarg_segment_align: 8
    .kernarg_segment_size: 24
    .language:       OpenCL C
    .language_version:
      - 2
      - 0
    .max_flat_workgroup_size: 60
    .name:           _Z11rank_kernelILj60ELj1ELj3ELb1EL18RadixRankAlgorithm1EfEvPKT4_Pijj
    .private_segment_fixed_size: 0
    .sgpr_count:     18
    .sgpr_spill_count: 0
    .symbol:         _Z11rank_kernelILj60ELj1ELj3ELb1EL18RadixRankAlgorithm1EfEvPKT4_Pijj.kd
    .uniform_work_group_size: 1
    .uses_dynamic_stack: false
    .vgpr_count:     14
    .vgpr_spill_count: 0
    .wavefront_size: 32
    .workgroup_processor_mode: 1
  - .args:
      - .address_space:  global
        .offset:         0
        .size:           8
        .value_kind:     global_buffer
      - .address_space:  global
        .offset:         8
        .size:           8
        .value_kind:     global_buffer
      - .offset:         16
        .size:           4
        .value_kind:     by_value
      - .offset:         20
        .size:           4
        .value_kind:     by_value
    .group_segment_fixed_size: 1648
    .kernarg_segment_align: 8
    .kernarg_segment_size: 24
    .language:       OpenCL C
    .language_version:
      - 2
      - 0
    .max_flat_workgroup_size: 102
    .name:           _Z11rank_kernelILj102ELj3ELj3ELb1EL18RadixRankAlgorithm1EtEvPKT4_Pijj
    .private_segment_fixed_size: 0
    .sgpr_count:     18
    .sgpr_spill_count: 0
    .symbol:         _Z11rank_kernelILj102ELj3ELj3ELb1EL18RadixRankAlgorithm1EtEvPKT4_Pijj.kd
    .uniform_work_group_size: 1
    .uses_dynamic_stack: false
    .vgpr_count:     19
    .vgpr_spill_count: 0
    .wavefront_size: 32
    .workgroup_processor_mode: 1
  - .args:
      - .address_space:  global
        .offset:         0
        .size:           8
        .value_kind:     global_buffer
      - .address_space:  global
        .offset:         8
        .size:           8
        .value_kind:     global_buffer
      - .offset:         16
        .size:           4
        .value_kind:     by_value
      - .offset:         20
        .size:           4
        .value_kind:     by_value
    .group_segment_fixed_size: 4112
    .kernarg_segment_align: 8
    .kernarg_segment_size: 24
    .language:       OpenCL C
    .language_version:
      - 2
      - 0
    .max_flat_workgroup_size: 64
    .name:           _Z11rank_kernelILj64ELj1ELj5ELb0EL18RadixRankAlgorithm1EyEvPKT4_Pijj
    .private_segment_fixed_size: 0
    .sgpr_count:     18
    .sgpr_spill_count: 0
    .symbol:         _Z11rank_kernelILj64ELj1ELj5ELb0EL18RadixRankAlgorithm1EyEvPKT4_Pijj.kd
    .uniform_work_group_size: 1
    .uses_dynamic_stack: false
    .vgpr_count:     26
    .vgpr_spill_count: 0
    .wavefront_size: 32
    .workgroup_processor_mode: 1
  - .args:
      - .address_space:  global
        .offset:         0
        .size:           8
        .value_kind:     global_buffer
      - .address_space:  global
        .offset:         8
        .size:           8
        .value_kind:     global_buffer
      - .offset:         16
        .size:           4
        .value_kind:     by_value
      - .offset:         20
        .size:           4
        .value_kind:     by_value
    .group_segment_fixed_size: 8432
    .kernarg_segment_align: 8
    .kernarg_segment_size: 24
    .language:       OpenCL C
    .language_version:
      - 2
      - 0
    .max_flat_workgroup_size: 234
    .name:           _Z11rank_kernelILj234ELj9ELj4ELb0EL18RadixRankAlgorithm1E12hip_bfloat16EvPKT4_Pijj
    .private_segment_fixed_size: 0
    .sgpr_count:     18
    .sgpr_spill_count: 0
    .symbol:         _Z11rank_kernelILj234ELj9ELj4ELb0EL18RadixRankAlgorithm1E12hip_bfloat16EvPKT4_Pijj.kd
    .uniform_work_group_size: 1
    .uses_dynamic_stack: false
    .vgpr_count:     35
    .vgpr_spill_count: 0
    .wavefront_size: 32
    .workgroup_processor_mode: 1
  - .args:
      - .address_space:  global
        .offset:         0
        .size:           8
        .value_kind:     global_buffer
      - .address_space:  global
        .offset:         8
        .size:           8
        .value_kind:     global_buffer
      - .offset:         16
        .size:           4
        .value_kind:     by_value
      - .offset:         20
        .size:           4
        .value_kind:     by_value
    .group_segment_fixed_size: 8432
    .kernarg_segment_align: 8
    .kernarg_segment_size: 24
    .language:       OpenCL C
    .language_version:
      - 2
      - 0
    .max_flat_workgroup_size: 234
    .name:           _Z11rank_kernelILj234ELj9ELj4ELb0EL18RadixRankAlgorithm1E6__halfEvPKT4_Pijj
    .private_segment_fixed_size: 0
    .sgpr_count:     18
    .sgpr_spill_count: 0
    .symbol:         _Z11rank_kernelILj234ELj9ELj4ELb0EL18RadixRankAlgorithm1E6__halfEvPKT4_Pijj.kd
    .uniform_work_group_size: 1
    .uses_dynamic_stack: false
    .vgpr_count:     35
    .vgpr_spill_count: 0
    .wavefront_size: 32
    .workgroup_processor_mode: 1
  - .args:
      - .address_space:  global
        .offset:         0
        .size:           8
        .value_kind:     global_buffer
      - .address_space:  global
        .offset:         8
        .size:           8
        .value_kind:     global_buffer
      - .offset:         16
        .size:           4
        .value_kind:     by_value
      - .offset:         20
        .size:           4
        .value_kind:     by_value
    .group_segment_fixed_size: 3216
    .kernarg_segment_align: 8
    .kernarg_segment_size: 24
    .language:       OpenCL C
    .language_version:
      - 2
      - 0
    .max_flat_workgroup_size: 100
    .name:           _Z11rank_kernelILj100ELj3ELj4ELb0EL18RadixRankAlgorithm1EtEvPKT4_Pijj
    .private_segment_fixed_size: 0
    .sgpr_count:     18
    .sgpr_spill_count: 0
    .symbol:         _Z11rank_kernelILj100ELj3ELj4ELb0EL18RadixRankAlgorithm1EtEvPKT4_Pijj.kd
    .uniform_work_group_size: 1
    .uses_dynamic_stack: false
    .vgpr_count:     23
    .vgpr_spill_count: 0
    .wavefront_size: 32
    .workgroup_processor_mode: 1
  - .args:
      - .address_space:  global
        .offset:         0
        .size:           8
        .value_kind:     global_buffer
      - .address_space:  global
        .offset:         8
        .size:           8
        .value_kind:     global_buffer
      - .offset:         16
        .size:           4
        .value_kind:     by_value
      - .offset:         20
        .size:           4
        .value_kind:     by_value
    .group_segment_fixed_size: 14912
    .kernarg_segment_align: 8
    .kernarg_segment_size: 24
    .language:       OpenCL C
    .language_version:
      - 2
      - 0
    .max_flat_workgroup_size: 464
    .name:           _Z11rank_kernelILj464ELj2ELj4ELb1EL18RadixRankAlgorithm1EcEvPKT4_Pijj
    .private_segment_fixed_size: 0
    .sgpr_count:     18
    .sgpr_spill_count: 0
    .symbol:         _Z11rank_kernelILj464ELj2ELj4ELb1EL18RadixRankAlgorithm1EcEvPKT4_Pijj.kd
    .uniform_work_group_size: 1
    .uses_dynamic_stack: false
    .vgpr_count:     20
    .vgpr_spill_count: 0
    .wavefront_size: 32
    .workgroup_processor_mode: 1
  - .args:
      - .address_space:  global
        .offset:         0
        .size:           8
        .value_kind:     global_buffer
      - .address_space:  global
        .offset:         8
        .size:           8
        .value_kind:     global_buffer
      - .offset:         16
        .size:           4
        .value_kind:     by_value
      - .offset:         20
        .size:           4
        .value_kind:     by_value
    .group_segment_fixed_size: 1328
    .kernarg_segment_align: 8
    .kernarg_segment_size: 24
    .language:       OpenCL C
    .language_version:
      - 2
      - 0
    .max_flat_workgroup_size: 33
    .name:           _Z11rank_kernelILj33ELj5ELj4ELb0EL18RadixRankAlgorithm1EdEvPKT4_Pijj
    .private_segment_fixed_size: 0
    .sgpr_count:     18
    .sgpr_spill_count: 0
    .symbol:         _Z11rank_kernelILj33ELj5ELj4ELb0EL18RadixRankAlgorithm1EdEvPKT4_Pijj.kd
    .uniform_work_group_size: 1
    .uses_dynamic_stack: false
    .vgpr_count:     26
    .vgpr_spill_count: 0
    .wavefront_size: 32
    .workgroup_processor_mode: 1
  - .args:
      - .address_space:  global
        .offset:         0
        .size:           8
        .value_kind:     global_buffer
      - .address_space:  global
        .offset:         8
        .size:           8
        .value_kind:     global_buffer
      - .offset:         16
        .size:           4
        .value_kind:     by_value
      - .offset:         20
        .size:           4
        .value_kind:     by_value
    .group_segment_fixed_size: 16448
    .kernarg_segment_align: 8
    .kernarg_segment_size: 24
    .language:       OpenCL C
    .language_version:
      - 2
      - 0
    .max_flat_workgroup_size: 512
    .name:           _Z11rank_kernelILj512ELj2ELj4ELb0EL18RadixRankAlgorithm1EfEvPKT4_Pijj
    .private_segment_fixed_size: 0
    .sgpr_count:     18
    .sgpr_spill_count: 0
    .symbol:         _Z11rank_kernelILj512ELj2ELj4ELb0EL18RadixRankAlgorithm1EfEvPKT4_Pijj.kd
    .uniform_work_group_size: 1
    .uses_dynamic_stack: false
    .vgpr_count:     20
    .vgpr_spill_count: 0
    .wavefront_size: 32
    .workgroup_processor_mode: 1
  - .args:
      - .address_space:  global
        .offset:         0
        .size:           8
        .value_kind:     global_buffer
      - .address_space:  global
        .offset:         8
        .size:           8
        .value_kind:     global_buffer
      - .offset:         16
        .size:           4
        .value_kind:     by_value
      - .offset:         20
        .size:           4
        .value_kind:     by_value
    .group_segment_fixed_size: 8224
    .kernarg_segment_align: 8
    .kernarg_segment_size: 24
    .language:       OpenCL C
    .language_version:
      - 2
      - 0
    .max_flat_workgroup_size: 256
    .name:           _Z11rank_kernelILj256ELj7ELj4ELb0EL18RadixRankAlgorithm1EtEvPKT4_Pijj
    .private_segment_fixed_size: 0
    .sgpr_count:     18
    .sgpr_spill_count: 0
    .symbol:         _Z11rank_kernelILj256ELj7ELj4ELb0EL18RadixRankAlgorithm1EtEvPKT4_Pijj.kd
    .uniform_work_group_size: 1
    .uses_dynamic_stack: false
    .vgpr_count:     31
    .vgpr_spill_count: 0
    .wavefront_size: 32
    .workgroup_processor_mode: 1
  - .args:
      - .address_space:  global
        .offset:         0
        .size:           8
        .value_kind:     global_buffer
      - .address_space:  global
        .offset:         8
        .size:           8
        .value_kind:     global_buffer
      - .offset:         16
        .size:           4
        .value_kind:     by_value
      - .offset:         20
        .size:           4
        .value_kind:     by_value
    .group_segment_fixed_size: 4112
    .kernarg_segment_align: 8
    .kernarg_segment_size: 24
    .language:       OpenCL C
    .language_version:
      - 2
      - 0
    .max_flat_workgroup_size: 128
    .name:           _Z11rank_kernelILj128ELj4ELj4ELb0EL18RadixRankAlgorithm1EiEvPKT4_Pijj
    .private_segment_fixed_size: 0
    .sgpr_count:     18
    .sgpr_spill_count: 0
    .symbol:         _Z11rank_kernelILj128ELj4ELj4ELb0EL18RadixRankAlgorithm1EiEvPKT4_Pijj.kd
    .uniform_work_group_size: 1
    .uses_dynamic_stack: false
    .vgpr_count:     25
    .vgpr_spill_count: 0
    .wavefront_size: 32
    .workgroup_processor_mode: 1
  - .args:
      - .address_space:  global
        .offset:         0
        .size:           8
        .value_kind:     global_buffer
      - .address_space:  global
        .offset:         8
        .size:           8
        .value_kind:     global_buffer
      - .offset:         16
        .size:           4
        .value_kind:     by_value
      - .offset:         20
        .size:           4
        .value_kind:     by_value
    .group_segment_fixed_size: 2064
    .kernarg_segment_align: 8
    .kernarg_segment_size: 24
    .language:       OpenCL C
    .language_version:
      - 2
      - 0
    .max_flat_workgroup_size: 64
    .name:           _Z11rank_kernelILj64ELj2ELj4ELb1EL18RadixRankAlgorithm1EyEvPKT4_Pijj
    .private_segment_fixed_size: 0
    .sgpr_count:     18
    .sgpr_spill_count: 0
    .symbol:         _Z11rank_kernelILj64ELj2ELj4ELb1EL18RadixRankAlgorithm1EyEvPKT4_Pijj.kd
    .uniform_work_group_size: 1
    .uses_dynamic_stack: false
    .vgpr_count:     21
    .vgpr_spill_count: 0
    .wavefront_size: 32
    .workgroup_processor_mode: 1
  - .args:
      - .address_space:  global
        .offset:         0
        .size:           8
        .value_kind:     global_buffer
      - .address_space:  global
        .offset:         8
        .size:           8
        .value_kind:     global_buffer
      - .offset:         16
        .size:           4
        .value_kind:     by_value
      - .offset:         20
        .size:           4
        .value_kind:     by_value
    .group_segment_fixed_size: 8192
    .kernarg_segment_align: 8
    .kernarg_segment_size: 24
    .language:       OpenCL C
    .language_version:
      - 2
      - 0
    .max_flat_workgroup_size: 255
    .name:           _Z11rank_kernelILj255ELj1ELj4ELb0EL18RadixRankAlgorithm1EhEvPKT4_Pijj
    .private_segment_fixed_size: 0
    .sgpr_count:     18
    .sgpr_spill_count: 0
    .symbol:         _Z11rank_kernelILj255ELj1ELj4ELb0EL18RadixRankAlgorithm1EhEvPKT4_Pijj.kd
    .uniform_work_group_size: 1
    .uses_dynamic_stack: false
    .vgpr_count:     18
    .vgpr_spill_count: 0
    .wavefront_size: 32
    .workgroup_processor_mode: 1
  - .args:
      - .address_space:  global
        .offset:         0
        .size:           8
        .value_kind:     global_buffer
      - .address_space:  global
        .offset:         8
        .size:           8
        .value_kind:     global_buffer
      - .offset:         16
        .size:           4
        .value_kind:     by_value
      - .offset:         20
        .size:           4
        .value_kind:     by_value
    .group_segment_fixed_size: 5216
    .kernarg_segment_align: 8
    .kernarg_segment_size: 24
    .language:       OpenCL C
    .language_version:
      - 2
      - 0
    .max_flat_workgroup_size: 162
    .name:           _Z11rank_kernelILj162ELj1ELj4ELb0EL18RadixRankAlgorithm1EjEvPKT4_Pijj
    .private_segment_fixed_size: 0
    .sgpr_count:     18
    .sgpr_spill_count: 0
    .symbol:         _Z11rank_kernelILj162ELj1ELj4ELb0EL18RadixRankAlgorithm1EjEvPKT4_Pijj.kd
    .uniform_work_group_size: 1
    .uses_dynamic_stack: false
    .vgpr_count:     18
    .vgpr_spill_count: 0
    .wavefront_size: 32
    .workgroup_processor_mode: 1
  - .args:
      - .address_space:  global
        .offset:         0
        .size:           8
        .value_kind:     global_buffer
      - .address_space:  global
        .offset:         8
        .size:           8
        .value_kind:     global_buffer
      - .offset:         16
        .size:           4
        .value_kind:     by_value
      - .offset:         20
        .size:           4
        .value_kind:     by_value
    .group_segment_fixed_size: 16384
    .kernarg_segment_align: 8
    .kernarg_segment_size: 24
    .language:       OpenCL C
    .language_version:
      - 2
      - 0
    .max_flat_workgroup_size: 510
    .name:           _Z11rank_kernelILj510ELj1ELj4ELb1EL18RadixRankAlgorithm1ExEvPKT4_Pijj
    .private_segment_fixed_size: 0
    .sgpr_count:     18
    .sgpr_spill_count: 0
    .symbol:         _Z11rank_kernelILj510ELj1ELj4ELb1EL18RadixRankAlgorithm1ExEvPKT4_Pijj.kd
    .uniform_work_group_size: 1
    .uses_dynamic_stack: false
    .vgpr_count:     17
    .vgpr_spill_count: 0
    .wavefront_size: 32
    .workgroup_processor_mode: 1
  - .args:
      - .address_space:  global
        .offset:         0
        .size:           8
        .value_kind:     global_buffer
      - .address_space:  global
        .offset:         8
        .size:           8
        .value_kind:     global_buffer
      - .offset:         16
        .size:           4
        .value_kind:     by_value
      - .offset:         20
        .size:           4
        .value_kind:     by_value
    .group_segment_fixed_size: 1200
    .kernarg_segment_align: 8
    .kernarg_segment_size: 24
    .language:       OpenCL C
    .language_version:
      - 2
      - 0
    .max_flat_workgroup_size: 37
    .name:           _Z11rank_kernelILj37ELj1ELj4ELb0EL18RadixRankAlgorithm1EfEvPKT4_Pijj
    .private_segment_fixed_size: 0
    .sgpr_count:     18
    .sgpr_spill_count: 0
    .symbol:         _Z11rank_kernelILj37ELj1ELj4ELb0EL18RadixRankAlgorithm1EfEvPKT4_Pijj.kd
    .uniform_work_group_size: 1
    .uses_dynamic_stack: false
    .vgpr_count:     18
    .vgpr_spill_count: 0
    .wavefront_size: 32
    .workgroup_processor_mode: 1
  - .args:
      - .address_space:  global
        .offset:         0
        .size:           8
        .value_kind:     global_buffer
      - .address_space:  global
        .offset:         8
        .size:           8
        .value_kind:     global_buffer
      - .offset:         16
        .size:           4
        .value_kind:     by_value
      - .offset:         20
        .size:           4
        .value_kind:     by_value
    .group_segment_fixed_size: 2096
    .kernarg_segment_align: 8
    .kernarg_segment_size: 24
    .language:       OpenCL C
    .language_version:
      - 2
      - 0
    .max_flat_workgroup_size: 65
    .name:           _Z11rank_kernelILj65ELj1ELj4ELb0EL18RadixRankAlgorithm1EdEvPKT4_Pijj
    .private_segment_fixed_size: 0
    .sgpr_count:     18
    .sgpr_spill_count: 0
    .symbol:         _Z11rank_kernelILj65ELj1ELj4ELb0EL18RadixRankAlgorithm1EdEvPKT4_Pijj.kd
    .uniform_work_group_size: 1
    .uses_dynamic_stack: false
    .vgpr_count:     18
    .vgpr_spill_count: 0
    .wavefront_size: 32
    .workgroup_processor_mode: 1
  - .args:
      - .address_space:  global
        .offset:         0
        .size:           8
        .value_kind:     global_buffer
      - .address_space:  global
        .offset:         8
        .size:           8
        .value_kind:     global_buffer
      - .offset:         16
        .size:           4
        .value_kind:     by_value
      - .offset:         20
        .size:           4
        .value_kind:     by_value
    .group_segment_fixed_size: 16448
    .kernarg_segment_align: 8
    .kernarg_segment_size: 24
    .language:       OpenCL C
    .language_version:
      - 2
      - 0
    .max_flat_workgroup_size: 512
    .name:           _Z11rank_kernelILj512ELj1ELj4ELb1EL18RadixRankAlgorithm1EtEvPKT4_Pijj
    .private_segment_fixed_size: 0
    .sgpr_count:     18
    .sgpr_spill_count: 0
    .symbol:         _Z11rank_kernelILj512ELj1ELj4ELb1EL18RadixRankAlgorithm1EtEvPKT4_Pijj.kd
    .uniform_work_group_size: 1
    .uses_dynamic_stack: false
    .vgpr_count:     17
    .vgpr_spill_count: 0
    .wavefront_size: 32
    .workgroup_processor_mode: 1
  - .args:
      - .address_space:  global
        .offset:         0
        .size:           8
        .value_kind:     global_buffer
      - .address_space:  global
        .offset:         8
        .size:           8
        .value_kind:     global_buffer
      - .offset:         16
        .size:           4
        .value_kind:     by_value
      - .offset:         20
        .size:           4
        .value_kind:     by_value
    .group_segment_fixed_size: 8224
    .kernarg_segment_align: 8
    .kernarg_segment_size: 24
    .language:       OpenCL C
    .language_version:
      - 2
      - 0
    .max_flat_workgroup_size: 256
    .name:           _Z11rank_kernelILj256ELj1ELj4ELb0EL18RadixRankAlgorithm1EfEvPKT4_Pijj
    .private_segment_fixed_size: 0
    .sgpr_count:     18
    .sgpr_spill_count: 0
    .symbol:         _Z11rank_kernelILj256ELj1ELj4ELb0EL18RadixRankAlgorithm1EfEvPKT4_Pijj.kd
    .uniform_work_group_size: 1
    .uses_dynamic_stack: false
    .vgpr_count:     18
    .vgpr_spill_count: 0
    .wavefront_size: 32
    .workgroup_processor_mode: 1
  - .args:
      - .address_space:  global
        .offset:         0
        .size:           8
        .value_kind:     global_buffer
      - .address_space:  global
        .offset:         8
        .size:           8
        .value_kind:     global_buffer
      - .offset:         16
        .size:           4
        .value_kind:     by_value
      - .offset:         20
        .size:           4
        .value_kind:     by_value
    .group_segment_fixed_size: 4112
    .kernarg_segment_align: 8
    .kernarg_segment_size: 24
    .language:       OpenCL C
    .language_version:
      - 2
      - 0
    .max_flat_workgroup_size: 128
    .name:           _Z11rank_kernelILj128ELj1ELj4ELb0EL18RadixRankAlgorithm1E12hip_bfloat16EvPKT4_Pijj
    .private_segment_fixed_size: 0
    .sgpr_count:     18
    .sgpr_spill_count: 0
    .symbol:         _Z11rank_kernelILj128ELj1ELj4ELb0EL18RadixRankAlgorithm1E12hip_bfloat16EvPKT4_Pijj.kd
    .uniform_work_group_size: 1
    .uses_dynamic_stack: false
    .vgpr_count:     18
    .vgpr_spill_count: 0
    .wavefront_size: 32
    .workgroup_processor_mode: 1
  - .args:
      - .address_space:  global
        .offset:         0
        .size:           8
        .value_kind:     global_buffer
      - .address_space:  global
        .offset:         8
        .size:           8
        .value_kind:     global_buffer
      - .offset:         16
        .size:           4
        .value_kind:     by_value
      - .offset:         20
        .size:           4
        .value_kind:     by_value
    .group_segment_fixed_size: 4112
    .kernarg_segment_align: 8
    .kernarg_segment_size: 24
    .language:       OpenCL C
    .language_version:
      - 2
      - 0
    .max_flat_workgroup_size: 128
    .name:           _Z11rank_kernelILj128ELj1ELj4ELb0EL18RadixRankAlgorithm1E6__halfEvPKT4_Pijj
    .private_segment_fixed_size: 0
    .sgpr_count:     18
    .sgpr_spill_count: 0
    .symbol:         _Z11rank_kernelILj128ELj1ELj4ELb0EL18RadixRankAlgorithm1E6__halfEvPKT4_Pijj.kd
    .uniform_work_group_size: 1
    .uses_dynamic_stack: false
    .vgpr_count:     18
    .vgpr_spill_count: 0
    .wavefront_size: 32
    .workgroup_processor_mode: 1
  - .args:
      - .address_space:  global
        .offset:         0
        .size:           8
        .value_kind:     global_buffer
      - .address_space:  global
        .offset:         8
        .size:           8
        .value_kind:     global_buffer
      - .offset:         16
        .size:           4
        .value_kind:     by_value
      - .offset:         20
        .size:           4
        .value_kind:     by_value
    .group_segment_fixed_size: 2064
    .kernarg_segment_align: 8
    .kernarg_segment_size: 24
    .language:       OpenCL C
    .language_version:
      - 2
      - 0
    .max_flat_workgroup_size: 64
    .name:           _Z11rank_kernelILj64ELj1ELj4ELb0EL18RadixRankAlgorithm1EjEvPKT4_Pijj
    .private_segment_fixed_size: 0
    .sgpr_count:     18
    .sgpr_spill_count: 0
    .symbol:         _Z11rank_kernelILj64ELj1ELj4ELb0EL18RadixRankAlgorithm1EjEvPKT4_Pijj.kd
    .uniform_work_group_size: 1
    .uses_dynamic_stack: false
    .vgpr_count:     18
    .vgpr_spill_count: 0
    .wavefront_size: 32
    .workgroup_processor_mode: 1
  - .args:
      - .address_space:  global
        .offset:         0
        .size:           8
        .value_kind:     global_buffer
      - .address_space:  global
        .offset:         8
        .size:           8
        .value_kind:     global_buffer
      - .offset:         16
        .size:           4
        .value_kind:     by_value
      - .offset:         20
        .size:           4
        .value_kind:     by_value
      - .offset:         24
        .size:           4
        .value_kind:     hidden_block_count_x
      - .offset:         28
        .size:           4
        .value_kind:     hidden_block_count_y
      - .offset:         32
        .size:           4
        .value_kind:     hidden_block_count_z
      - .offset:         36
        .size:           2
        .value_kind:     hidden_group_size_x
      - .offset:         38
        .size:           2
        .value_kind:     hidden_group_size_y
      - .offset:         40
        .size:           2
        .value_kind:     hidden_group_size_z
      - .offset:         42
        .size:           2
        .value_kind:     hidden_remainder_x
      - .offset:         44
        .size:           2
        .value_kind:     hidden_remainder_y
      - .offset:         46
        .size:           2
        .value_kind:     hidden_remainder_z
      - .offset:         64
        .size:           8
        .value_kind:     hidden_global_offset_x
      - .offset:         72
        .size:           8
        .value_kind:     hidden_global_offset_y
      - .offset:         80
        .size:           8
        .value_kind:     hidden_global_offset_z
      - .offset:         88
        .size:           2
        .value_kind:     hidden_grid_dims
    .group_segment_fixed_size: 1600
    .kernarg_segment_align: 8
    .kernarg_segment_size: 280
    .language:       OpenCL C
    .language_version:
      - 2
      - 0
    .max_flat_workgroup_size: 193
    .name:           _Z11rank_kernelILj193ELj2ELj4ELb1EL18RadixRankAlgorithm2E12hip_bfloat16EvPKT4_Pijj
    .private_segment_fixed_size: 0
    .sgpr_count:     18
    .sgpr_spill_count: 0
    .symbol:         _Z11rank_kernelILj193ELj2ELj4ELb1EL18RadixRankAlgorithm2E12hip_bfloat16EvPKT4_Pijj.kd
    .uniform_work_group_size: 1
    .uses_dynamic_stack: false
    .vgpr_count:     20
    .vgpr_spill_count: 0
    .wavefront_size: 32
    .workgroup_processor_mode: 1
  - .args:
      - .address_space:  global
        .offset:         0
        .size:           8
        .value_kind:     global_buffer
      - .address_space:  global
        .offset:         8
        .size:           8
        .value_kind:     global_buffer
      - .offset:         16
        .size:           4
        .value_kind:     by_value
      - .offset:         20
        .size:           4
        .value_kind:     by_value
      - .offset:         24
        .size:           4
        .value_kind:     hidden_block_count_x
      - .offset:         28
        .size:           4
        .value_kind:     hidden_block_count_y
      - .offset:         32
        .size:           4
        .value_kind:     hidden_block_count_z
      - .offset:         36
        .size:           2
        .value_kind:     hidden_group_size_x
      - .offset:         38
        .size:           2
        .value_kind:     hidden_group_size_y
      - .offset:         40
        .size:           2
        .value_kind:     hidden_group_size_z
      - .offset:         42
        .size:           2
        .value_kind:     hidden_remainder_x
      - .offset:         44
        .size:           2
        .value_kind:     hidden_remainder_y
      - .offset:         46
        .size:           2
        .value_kind:     hidden_remainder_z
      - .offset:         64
        .size:           8
        .value_kind:     hidden_global_offset_x
      - .offset:         72
        .size:           8
        .value_kind:     hidden_global_offset_y
      - .offset:         80
        .size:           8
        .value_kind:     hidden_global_offset_z
      - .offset:         88
        .size:           2
        .value_kind:     hidden_grid_dims
    .group_segment_fixed_size: 1600
    .kernarg_segment_align: 8
    .kernarg_segment_size: 280
    .language:       OpenCL C
    .language_version:
      - 2
      - 0
    .max_flat_workgroup_size: 193
    .name:           _Z11rank_kernelILj193ELj2ELj4ELb1EL18RadixRankAlgorithm2E6__halfEvPKT4_Pijj
    .private_segment_fixed_size: 0
    .sgpr_count:     18
    .sgpr_spill_count: 0
    .symbol:         _Z11rank_kernelILj193ELj2ELj4ELb1EL18RadixRankAlgorithm2E6__halfEvPKT4_Pijj.kd
    .uniform_work_group_size: 1
    .uses_dynamic_stack: false
    .vgpr_count:     20
    .vgpr_spill_count: 0
    .wavefront_size: 32
    .workgroup_processor_mode: 1
  - .args:
      - .address_space:  global
        .offset:         0
        .size:           8
        .value_kind:     global_buffer
      - .address_space:  global
        .offset:         8
        .size:           8
        .value_kind:     global_buffer
      - .offset:         16
        .size:           4
        .value_kind:     by_value
      - .offset:         20
        .size:           4
        .value_kind:     by_value
      - .offset:         24
        .size:           4
        .value_kind:     hidden_block_count_x
      - .offset:         28
        .size:           4
        .value_kind:     hidden_block_count_y
      - .offset:         32
        .size:           4
        .value_kind:     hidden_block_count_z
      - .offset:         36
        .size:           2
        .value_kind:     hidden_group_size_x
      - .offset:         38
        .size:           2
        .value_kind:     hidden_group_size_y
      - .offset:         40
        .size:           2
        .value_kind:     hidden_group_size_z
      - .offset:         42
        .size:           2
        .value_kind:     hidden_remainder_x
      - .offset:         44
        .size:           2
        .value_kind:     hidden_remainder_y
      - .offset:         46
        .size:           2
        .value_kind:     hidden_remainder_z
      - .offset:         64
        .size:           8
        .value_kind:     hidden_global_offset_x
      - .offset:         72
        .size:           8
        .value_kind:     hidden_global_offset_y
      - .offset:         80
        .size:           8
        .value_kind:     hidden_global_offset_z
      - .offset:         88
        .size:           2
        .value_kind:     hidden_grid_dims
    .group_segment_fixed_size: 1968
    .kernarg_segment_align: 8
    .kernarg_segment_size: 280
    .language:       OpenCL C
    .language_version:
      - 2
      - 0
    .max_flat_workgroup_size: 162
    .name:           _Z11rank_kernelILj162ELj2ELj6ELb1EL18RadixRankAlgorithm2EjEvPKT4_Pijj
    .private_segment_fixed_size: 0
    .sgpr_count:     18
    .sgpr_spill_count: 0
    .symbol:         _Z11rank_kernelILj162ELj2ELj6ELb1EL18RadixRankAlgorithm2EjEvPKT4_Pijj.kd
    .uniform_work_group_size: 1
    .uses_dynamic_stack: false
    .vgpr_count:     21
    .vgpr_spill_count: 0
    .wavefront_size: 32
    .workgroup_processor_mode: 1
  - .args:
      - .address_space:  global
        .offset:         0
        .size:           8
        .value_kind:     global_buffer
      - .address_space:  global
        .offset:         8
        .size:           8
        .value_kind:     global_buffer
      - .offset:         16
        .size:           4
        .value_kind:     by_value
      - .offset:         20
        .size:           4
        .value_kind:     by_value
      - .offset:         24
        .size:           4
        .value_kind:     hidden_block_count_x
      - .offset:         28
        .size:           4
        .value_kind:     hidden_block_count_y
      - .offset:         32
        .size:           4
        .value_kind:     hidden_block_count_z
      - .offset:         36
        .size:           2
        .value_kind:     hidden_group_size_x
      - .offset:         38
        .size:           2
        .value_kind:     hidden_group_size_y
      - .offset:         40
        .size:           2
        .value_kind:     hidden_group_size_z
      - .offset:         42
        .size:           2
        .value_kind:     hidden_remainder_x
      - .offset:         44
        .size:           2
        .value_kind:     hidden_remainder_y
      - .offset:         46
        .size:           2
        .value_kind:     hidden_remainder_z
      - .offset:         64
        .size:           8
        .value_kind:     hidden_global_offset_x
      - .offset:         72
        .size:           8
        .value_kind:     hidden_global_offset_y
      - .offset:         80
        .size:           8
        .value_kind:     hidden_global_offset_z
      - .offset:         88
        .size:           2
        .value_kind:     hidden_grid_dims
    .group_segment_fixed_size: 256
    .kernarg_segment_align: 8
    .kernarg_segment_size: 280
    .language:       OpenCL C
    .language_version:
      - 2
      - 0
    .max_flat_workgroup_size: 60
    .name:           _Z11rank_kernelILj60ELj1ELj3ELb1EL18RadixRankAlgorithm2EfEvPKT4_Pijj
    .private_segment_fixed_size: 0
    .sgpr_count:     18
    .sgpr_spill_count: 0
    .symbol:         _Z11rank_kernelILj60ELj1ELj3ELb1EL18RadixRankAlgorithm2EfEvPKT4_Pijj.kd
    .uniform_work_group_size: 1
    .uses_dynamic_stack: false
    .vgpr_count:     13
    .vgpr_spill_count: 0
    .wavefront_size: 32
    .workgroup_processor_mode: 1
  - .args:
      - .address_space:  global
        .offset:         0
        .size:           8
        .value_kind:     global_buffer
      - .address_space:  global
        .offset:         8
        .size:           8
        .value_kind:     global_buffer
      - .offset:         16
        .size:           4
        .value_kind:     by_value
      - .offset:         20
        .size:           4
        .value_kind:     by_value
      - .offset:         24
        .size:           4
        .value_kind:     hidden_block_count_x
      - .offset:         28
        .size:           4
        .value_kind:     hidden_block_count_y
      - .offset:         32
        .size:           4
        .value_kind:     hidden_block_count_z
      - .offset:         36
        .size:           2
        .value_kind:     hidden_group_size_x
      - .offset:         38
        .size:           2
        .value_kind:     hidden_group_size_y
      - .offset:         40
        .size:           2
        .value_kind:     hidden_group_size_z
      - .offset:         42
        .size:           2
        .value_kind:     hidden_remainder_x
      - .offset:         44
        .size:           2
        .value_kind:     hidden_remainder_y
      - .offset:         46
        .size:           2
        .value_kind:     hidden_remainder_z
      - .offset:         64
        .size:           8
        .value_kind:     hidden_global_offset_x
      - .offset:         72
        .size:           8
        .value_kind:     hidden_global_offset_y
      - .offset:         80
        .size:           8
        .value_kind:     hidden_global_offset_z
      - .offset:         88
        .size:           2
        .value_kind:     hidden_grid_dims
    .group_segment_fixed_size: 1232
    .kernarg_segment_align: 8
    .kernarg_segment_size: 280
    .language:       OpenCL C
    .language_version:
      - 2
      - 0
    .max_flat_workgroup_size: 102
    .name:           _Z11rank_kernelILj102ELj3ELj3ELb1EL18RadixRankAlgorithm2EtEvPKT4_Pijj
    .private_segment_fixed_size: 0
    .sgpr_count:     18
    .sgpr_spill_count: 0
    .symbol:         _Z11rank_kernelILj102ELj3ELj3ELb1EL18RadixRankAlgorithm2EtEvPKT4_Pijj.kd
    .uniform_work_group_size: 1
    .uses_dynamic_stack: false
    .vgpr_count:     21
    .vgpr_spill_count: 0
    .wavefront_size: 32
    .workgroup_processor_mode: 1
  - .args:
      - .address_space:  global
        .offset:         0
        .size:           8
        .value_kind:     global_buffer
      - .address_space:  global
        .offset:         8
        .size:           8
        .value_kind:     global_buffer
      - .offset:         16
        .size:           4
        .value_kind:     by_value
      - .offset:         20
        .size:           4
        .value_kind:     by_value
      - .offset:         24
        .size:           4
        .value_kind:     hidden_block_count_x
      - .offset:         28
        .size:           4
        .value_kind:     hidden_block_count_y
      - .offset:         32
        .size:           4
        .value_kind:     hidden_block_count_z
      - .offset:         36
        .size:           2
        .value_kind:     hidden_group_size_x
      - .offset:         38
        .size:           2
        .value_kind:     hidden_group_size_y
      - .offset:         40
        .size:           2
        .value_kind:     hidden_group_size_z
      - .offset:         42
        .size:           2
        .value_kind:     hidden_remainder_x
      - .offset:         44
        .size:           2
        .value_kind:     hidden_remainder_y
      - .offset:         46
        .size:           2
        .value_kind:     hidden_remainder_z
      - .offset:         64
        .size:           8
        .value_kind:     hidden_global_offset_x
      - .offset:         72
        .size:           8
        .value_kind:     hidden_global_offset_y
      - .offset:         80
        .size:           8
        .value_kind:     hidden_global_offset_z
      - .offset:         88
        .size:           2
        .value_kind:     hidden_grid_dims
    .group_segment_fixed_size: 528
    .kernarg_segment_align: 8
    .kernarg_segment_size: 280
    .language:       OpenCL C
    .language_version:
      - 2
      - 0
    .max_flat_workgroup_size: 64
    .name:           _Z11rank_kernelILj64ELj1ELj5ELb0EL18RadixRankAlgorithm2EyEvPKT4_Pijj
    .private_segment_fixed_size: 0
    .sgpr_count:     18
    .sgpr_spill_count: 0
    .symbol:         _Z11rank_kernelILj64ELj1ELj5ELb0EL18RadixRankAlgorithm2EyEvPKT4_Pijj.kd
    .uniform_work_group_size: 1
    .uses_dynamic_stack: false
    .vgpr_count:     14
    .vgpr_spill_count: 0
    .wavefront_size: 32
    .workgroup_processor_mode: 1
  - .args:
      - .address_space:  global
        .offset:         0
        .size:           8
        .value_kind:     global_buffer
      - .address_space:  global
        .offset:         8
        .size:           8
        .value_kind:     global_buffer
      - .offset:         16
        .size:           4
        .value_kind:     by_value
      - .offset:         20
        .size:           4
        .value_kind:     by_value
      - .offset:         24
        .size:           4
        .value_kind:     hidden_block_count_x
      - .offset:         28
        .size:           4
        .value_kind:     hidden_block_count_y
      - .offset:         32
        .size:           4
        .value_kind:     hidden_block_count_z
      - .offset:         36
        .size:           2
        .value_kind:     hidden_group_size_x
      - .offset:         38
        .size:           2
        .value_kind:     hidden_group_size_y
      - .offset:         40
        .size:           2
        .value_kind:     hidden_group_size_z
      - .offset:         42
        .size:           2
        .value_kind:     hidden_remainder_x
      - .offset:         44
        .size:           2
        .value_kind:     hidden_remainder_y
      - .offset:         46
        .size:           2
        .value_kind:     hidden_remainder_z
      - .offset:         64
        .size:           8
        .value_kind:     hidden_global_offset_x
      - .offset:         72
        .size:           8
        .value_kind:     hidden_global_offset_y
      - .offset:         80
        .size:           8
        .value_kind:     hidden_global_offset_z
      - .offset:         88
        .size:           2
        .value_kind:     hidden_grid_dims
    .group_segment_fixed_size: 8432
    .kernarg_segment_align: 8
    .kernarg_segment_size: 280
    .language:       OpenCL C
    .language_version:
      - 2
      - 0
    .max_flat_workgroup_size: 234
    .name:           _Z11rank_kernelILj234ELj9ELj4ELb0EL18RadixRankAlgorithm2E12hip_bfloat16EvPKT4_Pijj
    .private_segment_fixed_size: 0
    .sgpr_count:     18
    .sgpr_spill_count: 0
    .symbol:         _Z11rank_kernelILj234ELj9ELj4ELb0EL18RadixRankAlgorithm2E12hip_bfloat16EvPKT4_Pijj.kd
    .uniform_work_group_size: 1
    .uses_dynamic_stack: false
    .vgpr_count:     39
    .vgpr_spill_count: 0
    .wavefront_size: 32
    .workgroup_processor_mode: 1
  - .args:
      - .address_space:  global
        .offset:         0
        .size:           8
        .value_kind:     global_buffer
      - .address_space:  global
        .offset:         8
        .size:           8
        .value_kind:     global_buffer
      - .offset:         16
        .size:           4
        .value_kind:     by_value
      - .offset:         20
        .size:           4
        .value_kind:     by_value
      - .offset:         24
        .size:           4
        .value_kind:     hidden_block_count_x
      - .offset:         28
        .size:           4
        .value_kind:     hidden_block_count_y
      - .offset:         32
        .size:           4
        .value_kind:     hidden_block_count_z
      - .offset:         36
        .size:           2
        .value_kind:     hidden_group_size_x
      - .offset:         38
        .size:           2
        .value_kind:     hidden_group_size_y
      - .offset:         40
        .size:           2
        .value_kind:     hidden_group_size_z
      - .offset:         42
        .size:           2
        .value_kind:     hidden_remainder_x
      - .offset:         44
        .size:           2
        .value_kind:     hidden_remainder_y
      - .offset:         46
        .size:           2
        .value_kind:     hidden_remainder_z
      - .offset:         64
        .size:           8
        .value_kind:     hidden_global_offset_x
      - .offset:         72
        .size:           8
        .value_kind:     hidden_global_offset_y
      - .offset:         80
        .size:           8
        .value_kind:     hidden_global_offset_z
      - .offset:         88
        .size:           2
        .value_kind:     hidden_grid_dims
    .group_segment_fixed_size: 8432
    .kernarg_segment_align: 8
    .kernarg_segment_size: 280
    .language:       OpenCL C
    .language_version:
      - 2
      - 0
    .max_flat_workgroup_size: 234
    .name:           _Z11rank_kernelILj234ELj9ELj4ELb0EL18RadixRankAlgorithm2E6__halfEvPKT4_Pijj
    .private_segment_fixed_size: 0
    .sgpr_count:     18
    .sgpr_spill_count: 0
    .symbol:         _Z11rank_kernelILj234ELj9ELj4ELb0EL18RadixRankAlgorithm2E6__halfEvPKT4_Pijj.kd
    .uniform_work_group_size: 1
    .uses_dynamic_stack: false
    .vgpr_count:     39
    .vgpr_spill_count: 0
    .wavefront_size: 32
    .workgroup_processor_mode: 1
  - .args:
      - .address_space:  global
        .offset:         0
        .size:           8
        .value_kind:     global_buffer
      - .address_space:  global
        .offset:         8
        .size:           8
        .value_kind:     global_buffer
      - .offset:         16
        .size:           4
        .value_kind:     by_value
      - .offset:         20
        .size:           4
        .value_kind:     by_value
      - .offset:         24
        .size:           4
        .value_kind:     hidden_block_count_x
      - .offset:         28
        .size:           4
        .value_kind:     hidden_block_count_y
      - .offset:         32
        .size:           4
        .value_kind:     hidden_block_count_z
      - .offset:         36
        .size:           2
        .value_kind:     hidden_group_size_x
      - .offset:         38
        .size:           2
        .value_kind:     hidden_group_size_y
      - .offset:         40
        .size:           2
        .value_kind:     hidden_group_size_z
      - .offset:         42
        .size:           2
        .value_kind:     hidden_remainder_x
      - .offset:         44
        .size:           2
        .value_kind:     hidden_remainder_y
      - .offset:         46
        .size:           2
        .value_kind:     hidden_remainder_z
      - .offset:         64
        .size:           8
        .value_kind:     hidden_global_offset_x
      - .offset:         72
        .size:           8
        .value_kind:     hidden_global_offset_y
      - .offset:         80
        .size:           8
        .value_kind:     hidden_global_offset_z
      - .offset:         88
        .size:           2
        .value_kind:     hidden_grid_dims
    .group_segment_fixed_size: 1200
    .kernarg_segment_align: 8
    .kernarg_segment_size: 280
    .language:       OpenCL C
    .language_version:
      - 2
      - 0
    .max_flat_workgroup_size: 100
    .name:           _Z11rank_kernelILj100ELj3ELj4ELb0EL18RadixRankAlgorithm2EtEvPKT4_Pijj
    .private_segment_fixed_size: 0
    .sgpr_count:     18
    .sgpr_spill_count: 0
    .symbol:         _Z11rank_kernelILj100ELj3ELj4ELb0EL18RadixRankAlgorithm2EtEvPKT4_Pijj.kd
    .uniform_work_group_size: 1
    .uses_dynamic_stack: false
    .vgpr_count:     22
    .vgpr_spill_count: 0
    .wavefront_size: 32
    .workgroup_processor_mode: 1
  - .args:
      - .address_space:  global
        .offset:         0
        .size:           8
        .value_kind:     global_buffer
      - .address_space:  global
        .offset:         8
        .size:           8
        .value_kind:     global_buffer
      - .offset:         16
        .size:           4
        .value_kind:     by_value
      - .offset:         20
        .size:           4
        .value_kind:     by_value
      - .offset:         24
        .size:           4
        .value_kind:     hidden_block_count_x
      - .offset:         28
        .size:           4
        .value_kind:     hidden_block_count_y
      - .offset:         32
        .size:           4
        .value_kind:     hidden_block_count_z
      - .offset:         36
        .size:           2
        .value_kind:     hidden_group_size_x
      - .offset:         38
        .size:           2
        .value_kind:     hidden_group_size_y
      - .offset:         40
        .size:           2
        .value_kind:     hidden_group_size_z
      - .offset:         42
        .size:           2
        .value_kind:     hidden_remainder_x
      - .offset:         44
        .size:           2
        .value_kind:     hidden_remainder_y
      - .offset:         46
        .size:           2
        .value_kind:     hidden_remainder_z
      - .offset:         64
        .size:           8
        .value_kind:     hidden_global_offset_x
      - .offset:         72
        .size:           8
        .value_kind:     hidden_global_offset_y
      - .offset:         80
        .size:           8
        .value_kind:     hidden_global_offset_z
      - .offset:         88
        .size:           2
        .value_kind:     hidden_grid_dims
    .group_segment_fixed_size: 3840
    .kernarg_segment_align: 8
    .kernarg_segment_size: 280
    .language:       OpenCL C
    .language_version:
      - 2
      - 0
    .max_flat_workgroup_size: 464
    .name:           _Z11rank_kernelILj464ELj2ELj4ELb1EL18RadixRankAlgorithm2EcEvPKT4_Pijj
    .private_segment_fixed_size: 0
    .sgpr_count:     18
    .sgpr_spill_count: 0
    .symbol:         _Z11rank_kernelILj464ELj2ELj4ELb1EL18RadixRankAlgorithm2EcEvPKT4_Pijj.kd
    .uniform_work_group_size: 1
    .uses_dynamic_stack: false
    .vgpr_count:     20
    .vgpr_spill_count: 0
    .wavefront_size: 32
    .workgroup_processor_mode: 1
  - .args:
      - .address_space:  global
        .offset:         0
        .size:           8
        .value_kind:     global_buffer
      - .address_space:  global
        .offset:         8
        .size:           8
        .value_kind:     global_buffer
      - .offset:         16
        .size:           4
        .value_kind:     by_value
      - .offset:         20
        .size:           4
        .value_kind:     by_value
      - .offset:         24
        .size:           4
        .value_kind:     hidden_block_count_x
      - .offset:         28
        .size:           4
        .value_kind:     hidden_block_count_y
      - .offset:         32
        .size:           4
        .value_kind:     hidden_block_count_z
      - .offset:         36
        .size:           2
        .value_kind:     hidden_group_size_x
      - .offset:         38
        .size:           2
        .value_kind:     hidden_group_size_y
      - .offset:         40
        .size:           2
        .value_kind:     hidden_group_size_z
      - .offset:         42
        .size:           2
        .value_kind:     hidden_remainder_x
      - .offset:         44
        .size:           2
        .value_kind:     hidden_remainder_y
      - .offset:         46
        .size:           2
        .value_kind:     hidden_remainder_z
      - .offset:         64
        .size:           8
        .value_kind:     hidden_global_offset_x
      - .offset:         72
        .size:           8
        .value_kind:     hidden_global_offset_y
      - .offset:         80
        .size:           8
        .value_kind:     hidden_global_offset_z
      - .offset:         88
        .size:           2
        .value_kind:     hidden_grid_dims
    .group_segment_fixed_size: 1328
    .kernarg_segment_align: 8
    .kernarg_segment_size: 280
    .language:       OpenCL C
    .language_version:
      - 2
      - 0
    .max_flat_workgroup_size: 33
    .name:           _Z11rank_kernelILj33ELj5ELj4ELb0EL18RadixRankAlgorithm2EdEvPKT4_Pijj
    .private_segment_fixed_size: 0
    .sgpr_count:     18
    .sgpr_spill_count: 0
    .symbol:         _Z11rank_kernelILj33ELj5ELj4ELb0EL18RadixRankAlgorithm2EdEvPKT4_Pijj.kd
    .uniform_work_group_size: 1
    .uses_dynamic_stack: false
    .vgpr_count:     31
    .vgpr_spill_count: 0
    .wavefront_size: 32
    .workgroup_processor_mode: 1
  - .args:
      - .address_space:  global
        .offset:         0
        .size:           8
        .value_kind:     global_buffer
      - .address_space:  global
        .offset:         8
        .size:           8
        .value_kind:     global_buffer
      - .offset:         16
        .size:           4
        .value_kind:     by_value
      - .offset:         20
        .size:           4
        .value_kind:     by_value
      - .offset:         24
        .size:           4
        .value_kind:     hidden_block_count_x
      - .offset:         28
        .size:           4
        .value_kind:     hidden_block_count_y
      - .offset:         32
        .size:           4
        .value_kind:     hidden_block_count_z
      - .offset:         36
        .size:           2
        .value_kind:     hidden_group_size_x
      - .offset:         38
        .size:           2
        .value_kind:     hidden_group_size_y
      - .offset:         40
        .size:           2
        .value_kind:     hidden_group_size_z
      - .offset:         42
        .size:           2
        .value_kind:     hidden_remainder_x
      - .offset:         44
        .size:           2
        .value_kind:     hidden_remainder_y
      - .offset:         46
        .size:           2
        .value_kind:     hidden_remainder_z
      - .offset:         64
        .size:           8
        .value_kind:     hidden_global_offset_x
      - .offset:         72
        .size:           8
        .value_kind:     hidden_global_offset_y
      - .offset:         80
        .size:           8
        .value_kind:     hidden_global_offset_z
      - .offset:         88
        .size:           2
        .value_kind:     hidden_grid_dims
    .group_segment_fixed_size: 4224
    .kernarg_segment_align: 8
    .kernarg_segment_size: 280
    .language:       OpenCL C
    .language_version:
      - 2
      - 0
    .max_flat_workgroup_size: 512
    .name:           _Z11rank_kernelILj512ELj2ELj4ELb0EL18RadixRankAlgorithm2EfEvPKT4_Pijj
    .private_segment_fixed_size: 0
    .sgpr_count:     18
    .sgpr_spill_count: 0
    .symbol:         _Z11rank_kernelILj512ELj2ELj4ELb0EL18RadixRankAlgorithm2EfEvPKT4_Pijj.kd
    .uniform_work_group_size: 1
    .uses_dynamic_stack: false
    .vgpr_count:     17
    .vgpr_spill_count: 0
    .wavefront_size: 32
    .workgroup_processor_mode: 1
  - .args:
      - .address_space:  global
        .offset:         0
        .size:           8
        .value_kind:     global_buffer
      - .address_space:  global
        .offset:         8
        .size:           8
        .value_kind:     global_buffer
      - .offset:         16
        .size:           4
        .value_kind:     by_value
      - .offset:         20
        .size:           4
        .value_kind:     by_value
      - .offset:         24
        .size:           4
        .value_kind:     hidden_block_count_x
      - .offset:         28
        .size:           4
        .value_kind:     hidden_block_count_y
      - .offset:         32
        .size:           4
        .value_kind:     hidden_block_count_z
      - .offset:         36
        .size:           2
        .value_kind:     hidden_group_size_x
      - .offset:         38
        .size:           2
        .value_kind:     hidden_group_size_y
      - .offset:         40
        .size:           2
        .value_kind:     hidden_group_size_z
      - .offset:         42
        .size:           2
        .value_kind:     hidden_remainder_x
      - .offset:         44
        .size:           2
        .value_kind:     hidden_remainder_y
      - .offset:         46
        .size:           2
        .value_kind:     hidden_remainder_z
      - .offset:         64
        .size:           8
        .value_kind:     hidden_global_offset_x
      - .offset:         72
        .size:           8
        .value_kind:     hidden_global_offset_y
      - .offset:         80
        .size:           8
        .value_kind:     hidden_global_offset_z
      - .offset:         88
        .size:           2
        .value_kind:     hidden_grid_dims
    .group_segment_fixed_size: 7168
    .kernarg_segment_align: 8
    .kernarg_segment_size: 280
    .language:       OpenCL C
    .language_version:
      - 2
      - 0
    .max_flat_workgroup_size: 256
    .name:           _Z11rank_kernelILj256ELj7ELj4ELb0EL18RadixRankAlgorithm2EtEvPKT4_Pijj
    .private_segment_fixed_size: 0
    .sgpr_count:     18
    .sgpr_spill_count: 0
    .symbol:         _Z11rank_kernelILj256ELj7ELj4ELb0EL18RadixRankAlgorithm2EtEvPKT4_Pijj.kd
    .uniform_work_group_size: 1
    .uses_dynamic_stack: false
    .vgpr_count:     31
    .vgpr_spill_count: 0
    .wavefront_size: 32
    .workgroup_processor_mode: 1
  - .args:
      - .address_space:  global
        .offset:         0
        .size:           8
        .value_kind:     global_buffer
      - .address_space:  global
        .offset:         8
        .size:           8
        .value_kind:     global_buffer
      - .offset:         16
        .size:           4
        .value_kind:     by_value
      - .offset:         20
        .size:           4
        .value_kind:     by_value
      - .offset:         24
        .size:           4
        .value_kind:     hidden_block_count_x
      - .offset:         28
        .size:           4
        .value_kind:     hidden_block_count_y
      - .offset:         32
        .size:           4
        .value_kind:     hidden_block_count_z
      - .offset:         36
        .size:           2
        .value_kind:     hidden_group_size_x
      - .offset:         38
        .size:           2
        .value_kind:     hidden_group_size_y
      - .offset:         40
        .size:           2
        .value_kind:     hidden_group_size_z
      - .offset:         42
        .size:           2
        .value_kind:     hidden_remainder_x
      - .offset:         44
        .size:           2
        .value_kind:     hidden_remainder_y
      - .offset:         46
        .size:           2
        .value_kind:     hidden_remainder_z
      - .offset:         64
        .size:           8
        .value_kind:     hidden_global_offset_x
      - .offset:         72
        .size:           8
        .value_kind:     hidden_global_offset_y
      - .offset:         80
        .size:           8
        .value_kind:     hidden_global_offset_z
      - .offset:         88
        .size:           2
        .value_kind:     hidden_grid_dims
    .group_segment_fixed_size: 2112
    .kernarg_segment_align: 8
    .kernarg_segment_size: 280
    .language:       OpenCL C
    .language_version:
      - 2
      - 0
    .max_flat_workgroup_size: 128
    .name:           _Z11rank_kernelILj128ELj4ELj4ELb0EL18RadixRankAlgorithm2EiEvPKT4_Pijj
    .private_segment_fixed_size: 0
    .sgpr_count:     18
    .sgpr_spill_count: 0
    .symbol:         _Z11rank_kernelILj128ELj4ELj4ELb0EL18RadixRankAlgorithm2EiEvPKT4_Pijj.kd
    .uniform_work_group_size: 1
    .uses_dynamic_stack: false
    .vgpr_count:     24
    .vgpr_spill_count: 0
    .wavefront_size: 32
    .workgroup_processor_mode: 1
  - .args:
      - .address_space:  global
        .offset:         0
        .size:           8
        .value_kind:     global_buffer
      - .address_space:  global
        .offset:         8
        .size:           8
        .value_kind:     global_buffer
      - .offset:         16
        .size:           4
        .value_kind:     by_value
      - .offset:         20
        .size:           4
        .value_kind:     by_value
      - .offset:         24
        .size:           4
        .value_kind:     hidden_block_count_x
      - .offset:         28
        .size:           4
        .value_kind:     hidden_block_count_y
      - .offset:         32
        .size:           4
        .value_kind:     hidden_block_count_z
      - .offset:         36
        .size:           2
        .value_kind:     hidden_group_size_x
      - .offset:         38
        .size:           2
        .value_kind:     hidden_group_size_y
      - .offset:         40
        .size:           2
        .value_kind:     hidden_group_size_z
      - .offset:         42
        .size:           2
        .value_kind:     hidden_remainder_x
      - .offset:         44
        .size:           2
        .value_kind:     hidden_remainder_y
      - .offset:         46
        .size:           2
        .value_kind:     hidden_remainder_z
      - .offset:         64
        .size:           8
        .value_kind:     hidden_global_offset_x
      - .offset:         72
        .size:           8
        .value_kind:     hidden_global_offset_y
      - .offset:         80
        .size:           8
        .value_kind:     hidden_global_offset_z
      - .offset:         88
        .size:           2
        .value_kind:     hidden_grid_dims
    .group_segment_fixed_size: 1056
    .kernarg_segment_align: 8
    .kernarg_segment_size: 280
    .language:       OpenCL C
    .language_version:
      - 2
      - 0
    .max_flat_workgroup_size: 64
    .name:           _Z11rank_kernelILj64ELj2ELj4ELb1EL18RadixRankAlgorithm2EyEvPKT4_Pijj
    .private_segment_fixed_size: 0
    .sgpr_count:     18
    .sgpr_spill_count: 0
    .symbol:         _Z11rank_kernelILj64ELj2ELj4ELb1EL18RadixRankAlgorithm2EyEvPKT4_Pijj.kd
    .uniform_work_group_size: 1
    .uses_dynamic_stack: false
    .vgpr_count:     18
    .vgpr_spill_count: 0
    .wavefront_size: 32
    .workgroup_processor_mode: 1
  - .args:
      - .address_space:  global
        .offset:         0
        .size:           8
        .value_kind:     global_buffer
      - .address_space:  global
        .offset:         8
        .size:           8
        .value_kind:     global_buffer
      - .offset:         16
        .size:           4
        .value_kind:     by_value
      - .offset:         20
        .size:           4
        .value_kind:     by_value
      - .offset:         24
        .size:           4
        .value_kind:     hidden_block_count_x
      - .offset:         28
        .size:           4
        .value_kind:     hidden_block_count_y
      - .offset:         32
        .size:           4
        .value_kind:     hidden_block_count_z
      - .offset:         36
        .size:           2
        .value_kind:     hidden_group_size_x
      - .offset:         38
        .size:           2
        .value_kind:     hidden_group_size_y
      - .offset:         40
        .size:           2
        .value_kind:     hidden_group_size_z
      - .offset:         42
        .size:           2
        .value_kind:     hidden_remainder_x
      - .offset:         44
        .size:           2
        .value_kind:     hidden_remainder_y
      - .offset:         46
        .size:           2
        .value_kind:     hidden_remainder_z
      - .offset:         64
        .size:           8
        .value_kind:     hidden_global_offset_x
      - .offset:         72
        .size:           8
        .value_kind:     hidden_global_offset_y
      - .offset:         80
        .size:           8
        .value_kind:     hidden_global_offset_z
      - .offset:         88
        .size:           2
        .value_kind:     hidden_grid_dims
    .group_segment_fixed_size: 1056
    .kernarg_segment_align: 8
    .kernarg_segment_size: 280
    .language:       OpenCL C
    .language_version:
      - 2
      - 0
    .max_flat_workgroup_size: 255
    .name:           _Z11rank_kernelILj255ELj1ELj4ELb0EL18RadixRankAlgorithm2EhEvPKT4_Pijj
    .private_segment_fixed_size: 0
    .sgpr_count:     18
    .sgpr_spill_count: 0
    .symbol:         _Z11rank_kernelILj255ELj1ELj4ELb0EL18RadixRankAlgorithm2EhEvPKT4_Pijj.kd
    .uniform_work_group_size: 1
    .uses_dynamic_stack: false
    .vgpr_count:     12
    .vgpr_spill_count: 0
    .wavefront_size: 32
    .workgroup_processor_mode: 1
  - .args:
      - .address_space:  global
        .offset:         0
        .size:           8
        .value_kind:     global_buffer
      - .address_space:  global
        .offset:         8
        .size:           8
        .value_kind:     global_buffer
      - .offset:         16
        .size:           4
        .value_kind:     by_value
      - .offset:         20
        .size:           4
        .value_kind:     by_value
      - .offset:         24
        .size:           4
        .value_kind:     hidden_block_count_x
      - .offset:         28
        .size:           4
        .value_kind:     hidden_block_count_y
      - .offset:         32
        .size:           4
        .value_kind:     hidden_block_count_z
      - .offset:         36
        .size:           2
        .value_kind:     hidden_group_size_x
      - .offset:         38
        .size:           2
        .value_kind:     hidden_group_size_y
      - .offset:         40
        .size:           2
        .value_kind:     hidden_group_size_z
      - .offset:         42
        .size:           2
        .value_kind:     hidden_remainder_x
      - .offset:         44
        .size:           2
        .value_kind:     hidden_remainder_y
      - .offset:         46
        .size:           2
        .value_kind:     hidden_remainder_z
      - .offset:         64
        .size:           8
        .value_kind:     hidden_global_offset_x
      - .offset:         72
        .size:           8
        .value_kind:     hidden_global_offset_y
      - .offset:         80
        .size:           8
        .value_kind:     hidden_global_offset_z
      - .offset:         88
        .size:           2
        .value_kind:     hidden_grid_dims
    .group_segment_fixed_size: 672
    .kernarg_segment_align: 8
    .kernarg_segment_size: 280
    .language:       OpenCL C
    .language_version:
      - 2
      - 0
    .max_flat_workgroup_size: 162
    .name:           _Z11rank_kernelILj162ELj1ELj4ELb0EL18RadixRankAlgorithm2EjEvPKT4_Pijj
    .private_segment_fixed_size: 0
    .sgpr_count:     18
    .sgpr_spill_count: 0
    .symbol:         _Z11rank_kernelILj162ELj1ELj4ELb0EL18RadixRankAlgorithm2EjEvPKT4_Pijj.kd
    .uniform_work_group_size: 1
    .uses_dynamic_stack: false
    .vgpr_count:     13
    .vgpr_spill_count: 0
    .wavefront_size: 32
    .workgroup_processor_mode: 1
  - .args:
      - .address_space:  global
        .offset:         0
        .size:           8
        .value_kind:     global_buffer
      - .address_space:  global
        .offset:         8
        .size:           8
        .value_kind:     global_buffer
      - .offset:         16
        .size:           4
        .value_kind:     by_value
      - .offset:         20
        .size:           4
        .value_kind:     by_value
      - .offset:         24
        .size:           4
        .value_kind:     hidden_block_count_x
      - .offset:         28
        .size:           4
        .value_kind:     hidden_block_count_y
      - .offset:         32
        .size:           4
        .value_kind:     hidden_block_count_z
      - .offset:         36
        .size:           2
        .value_kind:     hidden_group_size_x
      - .offset:         38
        .size:           2
        .value_kind:     hidden_group_size_y
      - .offset:         40
        .size:           2
        .value_kind:     hidden_group_size_z
      - .offset:         42
        .size:           2
        .value_kind:     hidden_remainder_x
      - .offset:         44
        .size:           2
        .value_kind:     hidden_remainder_y
      - .offset:         46
        .size:           2
        .value_kind:     hidden_remainder_z
      - .offset:         64
        .size:           8
        .value_kind:     hidden_global_offset_x
      - .offset:         72
        .size:           8
        .value_kind:     hidden_global_offset_y
      - .offset:         80
        .size:           8
        .value_kind:     hidden_global_offset_z
      - .offset:         88
        .size:           2
        .value_kind:     hidden_grid_dims
    .group_segment_fixed_size: 4080
    .kernarg_segment_align: 8
    .kernarg_segment_size: 280
    .language:       OpenCL C
    .language_version:
      - 2
      - 0
    .max_flat_workgroup_size: 510
    .name:           _Z11rank_kernelILj510ELj1ELj4ELb1EL18RadixRankAlgorithm2ExEvPKT4_Pijj
    .private_segment_fixed_size: 0
    .sgpr_count:     18
    .sgpr_spill_count: 0
    .symbol:         _Z11rank_kernelILj510ELj1ELj4ELb1EL18RadixRankAlgorithm2ExEvPKT4_Pijj.kd
    .uniform_work_group_size: 1
    .uses_dynamic_stack: false
    .vgpr_count:     13
    .vgpr_spill_count: 0
    .wavefront_size: 32
    .workgroup_processor_mode: 1
  - .args:
      - .address_space:  global
        .offset:         0
        .size:           8
        .value_kind:     global_buffer
      - .address_space:  global
        .offset:         8
        .size:           8
        .value_kind:     global_buffer
      - .offset:         16
        .size:           4
        .value_kind:     by_value
      - .offset:         20
        .size:           4
        .value_kind:     by_value
      - .offset:         24
        .size:           4
        .value_kind:     hidden_block_count_x
      - .offset:         28
        .size:           4
        .value_kind:     hidden_block_count_y
      - .offset:         32
        .size:           4
        .value_kind:     hidden_block_count_z
      - .offset:         36
        .size:           2
        .value_kind:     hidden_group_size_x
      - .offset:         38
        .size:           2
        .value_kind:     hidden_group_size_y
      - .offset:         40
        .size:           2
        .value_kind:     hidden_group_size_z
      - .offset:         42
        .size:           2
        .value_kind:     hidden_remainder_x
      - .offset:         44
        .size:           2
        .value_kind:     hidden_remainder_y
      - .offset:         46
        .size:           2
        .value_kind:     hidden_remainder_z
      - .offset:         64
        .size:           8
        .value_kind:     hidden_global_offset_x
      - .offset:         72
        .size:           8
        .value_kind:     hidden_global_offset_y
      - .offset:         80
        .size:           8
        .value_kind:     hidden_global_offset_z
      - .offset:         88
        .size:           2
        .value_kind:     hidden_grid_dims
    .group_segment_fixed_size: 304
    .kernarg_segment_align: 8
    .kernarg_segment_size: 280
    .language:       OpenCL C
    .language_version:
      - 2
      - 0
    .max_flat_workgroup_size: 37
    .name:           _Z11rank_kernelILj37ELj1ELj4ELb0EL18RadixRankAlgorithm2EfEvPKT4_Pijj
    .private_segment_fixed_size: 0
    .sgpr_count:     18
    .sgpr_spill_count: 0
    .symbol:         _Z11rank_kernelILj37ELj1ELj4ELb0EL18RadixRankAlgorithm2EfEvPKT4_Pijj.kd
    .uniform_work_group_size: 1
    .uses_dynamic_stack: false
    .vgpr_count:     13
    .vgpr_spill_count: 0
    .wavefront_size: 32
    .workgroup_processor_mode: 1
  - .args:
      - .address_space:  global
        .offset:         0
        .size:           8
        .value_kind:     global_buffer
      - .address_space:  global
        .offset:         8
        .size:           8
        .value_kind:     global_buffer
      - .offset:         16
        .size:           4
        .value_kind:     by_value
      - .offset:         20
        .size:           4
        .value_kind:     by_value
      - .offset:         24
        .size:           4
        .value_kind:     hidden_block_count_x
      - .offset:         28
        .size:           4
        .value_kind:     hidden_block_count_y
      - .offset:         32
        .size:           4
        .value_kind:     hidden_block_count_z
      - .offset:         36
        .size:           2
        .value_kind:     hidden_group_size_x
      - .offset:         38
        .size:           2
        .value_kind:     hidden_group_size_y
      - .offset:         40
        .size:           2
        .value_kind:     hidden_group_size_z
      - .offset:         42
        .size:           2
        .value_kind:     hidden_remainder_x
      - .offset:         44
        .size:           2
        .value_kind:     hidden_remainder_y
      - .offset:         46
        .size:           2
        .value_kind:     hidden_remainder_z
      - .offset:         64
        .size:           8
        .value_kind:     hidden_global_offset_x
      - .offset:         72
        .size:           8
        .value_kind:     hidden_global_offset_y
      - .offset:         80
        .size:           8
        .value_kind:     hidden_global_offset_z
      - .offset:         88
        .size:           2
        .value_kind:     hidden_grid_dims
    .group_segment_fixed_size: 528
    .kernarg_segment_align: 8
    .kernarg_segment_size: 280
    .language:       OpenCL C
    .language_version:
      - 2
      - 0
    .max_flat_workgroup_size: 65
    .name:           _Z11rank_kernelILj65ELj1ELj4ELb0EL18RadixRankAlgorithm2EdEvPKT4_Pijj
    .private_segment_fixed_size: 0
    .sgpr_count:     18
    .sgpr_spill_count: 0
    .symbol:         _Z11rank_kernelILj65ELj1ELj4ELb0EL18RadixRankAlgorithm2EdEvPKT4_Pijj.kd
    .uniform_work_group_size: 1
    .uses_dynamic_stack: false
    .vgpr_count:     13
    .vgpr_spill_count: 0
    .wavefront_size: 32
    .workgroup_processor_mode: 1
  - .args:
      - .address_space:  global
        .offset:         0
        .size:           8
        .value_kind:     global_buffer
      - .address_space:  global
        .offset:         8
        .size:           8
        .value_kind:     global_buffer
      - .offset:         16
        .size:           4
        .value_kind:     by_value
      - .offset:         20
        .size:           4
        .value_kind:     by_value
      - .offset:         24
        .size:           4
        .value_kind:     hidden_block_count_x
      - .offset:         28
        .size:           4
        .value_kind:     hidden_block_count_y
      - .offset:         32
        .size:           4
        .value_kind:     hidden_block_count_z
      - .offset:         36
        .size:           2
        .value_kind:     hidden_group_size_x
      - .offset:         38
        .size:           2
        .value_kind:     hidden_group_size_y
      - .offset:         40
        .size:           2
        .value_kind:     hidden_group_size_z
      - .offset:         42
        .size:           2
        .value_kind:     hidden_remainder_x
      - .offset:         44
        .size:           2
        .value_kind:     hidden_remainder_y
      - .offset:         46
        .size:           2
        .value_kind:     hidden_remainder_z
      - .offset:         64
        .size:           8
        .value_kind:     hidden_global_offset_x
      - .offset:         72
        .size:           8
        .value_kind:     hidden_global_offset_y
      - .offset:         80
        .size:           8
        .value_kind:     hidden_global_offset_z
      - .offset:         88
        .size:           2
        .value_kind:     hidden_grid_dims
    .group_segment_fixed_size: 2112
    .kernarg_segment_align: 8
    .kernarg_segment_size: 280
    .language:       OpenCL C
    .language_version:
      - 2
      - 0
    .max_flat_workgroup_size: 512
    .name:           _Z11rank_kernelILj512ELj1ELj4ELb1EL18RadixRankAlgorithm2EtEvPKT4_Pijj
    .private_segment_fixed_size: 0
    .sgpr_count:     18
    .sgpr_spill_count: 0
    .symbol:         _Z11rank_kernelILj512ELj1ELj4ELb1EL18RadixRankAlgorithm2EtEvPKT4_Pijj.kd
    .uniform_work_group_size: 1
    .uses_dynamic_stack: false
    .vgpr_count:     12
    .vgpr_spill_count: 0
    .wavefront_size: 32
    .workgroup_processor_mode: 1
  - .args:
      - .address_space:  global
        .offset:         0
        .size:           8
        .value_kind:     global_buffer
      - .address_space:  global
        .offset:         8
        .size:           8
        .value_kind:     global_buffer
      - .offset:         16
        .size:           4
        .value_kind:     by_value
      - .offset:         20
        .size:           4
        .value_kind:     by_value
      - .offset:         24
        .size:           4
        .value_kind:     hidden_block_count_x
      - .offset:         28
        .size:           4
        .value_kind:     hidden_block_count_y
      - .offset:         32
        .size:           4
        .value_kind:     hidden_block_count_z
      - .offset:         36
        .size:           2
        .value_kind:     hidden_group_size_x
      - .offset:         38
        .size:           2
        .value_kind:     hidden_group_size_y
      - .offset:         40
        .size:           2
        .value_kind:     hidden_group_size_z
      - .offset:         42
        .size:           2
        .value_kind:     hidden_remainder_x
      - .offset:         44
        .size:           2
        .value_kind:     hidden_remainder_y
      - .offset:         46
        .size:           2
        .value_kind:     hidden_remainder_z
      - .offset:         64
        .size:           8
        .value_kind:     hidden_global_offset_x
      - .offset:         72
        .size:           8
        .value_kind:     hidden_global_offset_y
      - .offset:         80
        .size:           8
        .value_kind:     hidden_global_offset_z
      - .offset:         88
        .size:           2
        .value_kind:     hidden_grid_dims
    .group_segment_fixed_size: 1056
    .kernarg_segment_align: 8
    .kernarg_segment_size: 280
    .language:       OpenCL C
    .language_version:
      - 2
      - 0
    .max_flat_workgroup_size: 256
    .name:           _Z11rank_kernelILj256ELj1ELj4ELb0EL18RadixRankAlgorithm2EfEvPKT4_Pijj
    .private_segment_fixed_size: 0
    .sgpr_count:     18
    .sgpr_spill_count: 0
    .symbol:         _Z11rank_kernelILj256ELj1ELj4ELb0EL18RadixRankAlgorithm2EfEvPKT4_Pijj.kd
    .uniform_work_group_size: 1
    .uses_dynamic_stack: false
    .vgpr_count:     13
    .vgpr_spill_count: 0
    .wavefront_size: 32
    .workgroup_processor_mode: 1
  - .args:
      - .address_space:  global
        .offset:         0
        .size:           8
        .value_kind:     global_buffer
      - .address_space:  global
        .offset:         8
        .size:           8
        .value_kind:     global_buffer
      - .offset:         16
        .size:           4
        .value_kind:     by_value
      - .offset:         20
        .size:           4
        .value_kind:     by_value
      - .offset:         24
        .size:           4
        .value_kind:     hidden_block_count_x
      - .offset:         28
        .size:           4
        .value_kind:     hidden_block_count_y
      - .offset:         32
        .size:           4
        .value_kind:     hidden_block_count_z
      - .offset:         36
        .size:           2
        .value_kind:     hidden_group_size_x
      - .offset:         38
        .size:           2
        .value_kind:     hidden_group_size_y
      - .offset:         40
        .size:           2
        .value_kind:     hidden_group_size_z
      - .offset:         42
        .size:           2
        .value_kind:     hidden_remainder_x
      - .offset:         44
        .size:           2
        .value_kind:     hidden_remainder_y
      - .offset:         46
        .size:           2
        .value_kind:     hidden_remainder_z
      - .offset:         64
        .size:           8
        .value_kind:     hidden_global_offset_x
      - .offset:         72
        .size:           8
        .value_kind:     hidden_global_offset_y
      - .offset:         80
        .size:           8
        .value_kind:     hidden_global_offset_z
      - .offset:         88
        .size:           2
        .value_kind:     hidden_grid_dims
    .group_segment_fixed_size: 528
    .kernarg_segment_align: 8
    .kernarg_segment_size: 280
    .language:       OpenCL C
    .language_version:
      - 2
      - 0
    .max_flat_workgroup_size: 128
    .name:           _Z11rank_kernelILj128ELj1ELj4ELb0EL18RadixRankAlgorithm2E12hip_bfloat16EvPKT4_Pijj
    .private_segment_fixed_size: 0
    .sgpr_count:     18
    .sgpr_spill_count: 0
    .symbol:         _Z11rank_kernelILj128ELj1ELj4ELb0EL18RadixRankAlgorithm2E12hip_bfloat16EvPKT4_Pijj.kd
    .uniform_work_group_size: 1
    .uses_dynamic_stack: false
    .vgpr_count:     12
    .vgpr_spill_count: 0
    .wavefront_size: 32
    .workgroup_processor_mode: 1
  - .args:
      - .address_space:  global
        .offset:         0
        .size:           8
        .value_kind:     global_buffer
      - .address_space:  global
        .offset:         8
        .size:           8
        .value_kind:     global_buffer
      - .offset:         16
        .size:           4
        .value_kind:     by_value
      - .offset:         20
        .size:           4
        .value_kind:     by_value
      - .offset:         24
        .size:           4
        .value_kind:     hidden_block_count_x
      - .offset:         28
        .size:           4
        .value_kind:     hidden_block_count_y
      - .offset:         32
        .size:           4
        .value_kind:     hidden_block_count_z
      - .offset:         36
        .size:           2
        .value_kind:     hidden_group_size_x
      - .offset:         38
        .size:           2
        .value_kind:     hidden_group_size_y
      - .offset:         40
        .size:           2
        .value_kind:     hidden_group_size_z
      - .offset:         42
        .size:           2
        .value_kind:     hidden_remainder_x
      - .offset:         44
        .size:           2
        .value_kind:     hidden_remainder_y
      - .offset:         46
        .size:           2
        .value_kind:     hidden_remainder_z
      - .offset:         64
        .size:           8
        .value_kind:     hidden_global_offset_x
      - .offset:         72
        .size:           8
        .value_kind:     hidden_global_offset_y
      - .offset:         80
        .size:           8
        .value_kind:     hidden_global_offset_z
      - .offset:         88
        .size:           2
        .value_kind:     hidden_grid_dims
    .group_segment_fixed_size: 528
    .kernarg_segment_align: 8
    .kernarg_segment_size: 280
    .language:       OpenCL C
    .language_version:
      - 2
      - 0
    .max_flat_workgroup_size: 128
    .name:           _Z11rank_kernelILj128ELj1ELj4ELb0EL18RadixRankAlgorithm2E6__halfEvPKT4_Pijj
    .private_segment_fixed_size: 0
    .sgpr_count:     18
    .sgpr_spill_count: 0
    .symbol:         _Z11rank_kernelILj128ELj1ELj4ELb0EL18RadixRankAlgorithm2E6__halfEvPKT4_Pijj.kd
    .uniform_work_group_size: 1
    .uses_dynamic_stack: false
    .vgpr_count:     12
    .vgpr_spill_count: 0
    .wavefront_size: 32
    .workgroup_processor_mode: 1
  - .args:
      - .address_space:  global
        .offset:         0
        .size:           8
        .value_kind:     global_buffer
      - .address_space:  global
        .offset:         8
        .size:           8
        .value_kind:     global_buffer
      - .offset:         16
        .size:           4
        .value_kind:     by_value
      - .offset:         20
        .size:           4
        .value_kind:     by_value
      - .offset:         24
        .size:           4
        .value_kind:     hidden_block_count_x
      - .offset:         28
        .size:           4
        .value_kind:     hidden_block_count_y
      - .offset:         32
        .size:           4
        .value_kind:     hidden_block_count_z
      - .offset:         36
        .size:           2
        .value_kind:     hidden_group_size_x
      - .offset:         38
        .size:           2
        .value_kind:     hidden_group_size_y
      - .offset:         40
        .size:           2
        .value_kind:     hidden_group_size_z
      - .offset:         42
        .size:           2
        .value_kind:     hidden_remainder_x
      - .offset:         44
        .size:           2
        .value_kind:     hidden_remainder_y
      - .offset:         46
        .size:           2
        .value_kind:     hidden_remainder_z
      - .offset:         64
        .size:           8
        .value_kind:     hidden_global_offset_x
      - .offset:         72
        .size:           8
        .value_kind:     hidden_global_offset_y
      - .offset:         80
        .size:           8
        .value_kind:     hidden_global_offset_z
      - .offset:         88
        .size:           2
        .value_kind:     hidden_grid_dims
    .group_segment_fixed_size: 272
    .kernarg_segment_align: 8
    .kernarg_segment_size: 280
    .language:       OpenCL C
    .language_version:
      - 2
      - 0
    .max_flat_workgroup_size: 64
    .name:           _Z11rank_kernelILj64ELj1ELj4ELb0EL18RadixRankAlgorithm2EjEvPKT4_Pijj
    .private_segment_fixed_size: 0
    .sgpr_count:     18
    .sgpr_spill_count: 0
    .symbol:         _Z11rank_kernelILj64ELj1ELj4ELb0EL18RadixRankAlgorithm2EjEvPKT4_Pijj.kd
    .uniform_work_group_size: 1
    .uses_dynamic_stack: false
    .vgpr_count:     13
    .vgpr_spill_count: 0
    .wavefront_size: 32
    .workgroup_processor_mode: 1
amdhsa.target:   amdgcn-amd-amdhsa--gfx1100
amdhsa.version:
  - 1
  - 2
...

	.end_amdgpu_metadata
